;; amdgpu-corpus repo=ROCm/rocFFT kind=compiled arch=gfx1030 opt=O3
	.text
	.amdgcn_target "amdgcn-amd-amdhsa--gfx1030"
	.amdhsa_code_object_version 6
	.protected	fft_rtc_fwd_len192_factors_4_4_2_2_3_wgs_252_tpt_12_dim3_sp_ip_CI_sbcc_twdbase8_3step_dirReg ; -- Begin function fft_rtc_fwd_len192_factors_4_4_2_2_3_wgs_252_tpt_12_dim3_sp_ip_CI_sbcc_twdbase8_3step_dirReg
	.globl	fft_rtc_fwd_len192_factors_4_4_2_2_3_wgs_252_tpt_12_dim3_sp_ip_CI_sbcc_twdbase8_3step_dirReg
	.p2align	8
	.type	fft_rtc_fwd_len192_factors_4_4_2_2_3_wgs_252_tpt_12_dim3_sp_ip_CI_sbcc_twdbase8_3step_dirReg,@function
fft_rtc_fwd_len192_factors_4_4_2_2_3_wgs_252_tpt_12_dim3_sp_ip_CI_sbcc_twdbase8_3step_dirReg: ; @fft_rtc_fwd_len192_factors_4_4_2_2_3_wgs_252_tpt_12_dim3_sp_ip_CI_sbcc_twdbase8_3step_dirReg
; %bb.0:
	s_load_dwordx4 s[0:3], s[4:5], 0x10
	s_waitcnt lgkmcnt(0)
	s_load_dwordx2 s[10:11], s[0:1], 0x8
	s_waitcnt lgkmcnt(0)
	s_add_u32 s7, s10, -1
	s_addc_u32 s8, s11, -1
	s_add_u32 s9, 0, 0x30c26c00
	s_addc_u32 s12, 0, 44
	s_mul_hi_u32 s14, s9, 0xffffffeb
	s_add_i32 s12, s12, 0xc30c2e0
	s_sub_i32 s14, s14, s9
	s_mul_i32 s16, s12, 0xffffffeb
	s_mul_i32 s13, s9, 0xffffffeb
	s_add_i32 s14, s14, s16
	s_mul_hi_u32 s15, s9, s13
	s_mul_i32 s18, s9, s14
	s_mul_hi_u32 s16, s9, s14
	s_mul_hi_u32 s17, s12, s13
	s_mul_i32 s13, s12, s13
	s_add_u32 s15, s15, s18
	s_addc_u32 s16, 0, s16
	s_mul_hi_u32 s19, s12, s14
	s_add_u32 s13, s15, s13
	s_mul_i32 s14, s12, s14
	s_addc_u32 s13, s16, s17
	s_addc_u32 s15, s19, 0
	s_add_u32 s13, s13, s14
	v_add_co_u32 v1, s9, s9, s13
	s_addc_u32 s13, 0, s15
	s_cmp_lg_u32 s9, 0
	s_addc_u32 s9, s12, s13
	v_readfirstlane_b32 s12, v1
	s_mul_i32 s14, s7, s9
	s_mul_hi_u32 s13, s7, s9
	s_mul_hi_u32 s15, s8, s9
	s_mul_i32 s9, s8, s9
	s_mul_hi_u32 s16, s7, s12
	s_mul_hi_u32 s17, s8, s12
	s_mul_i32 s12, s8, s12
	s_add_u32 s14, s16, s14
	s_addc_u32 s13, 0, s13
	s_add_u32 s12, s14, s12
	s_addc_u32 s12, s13, s17
	s_addc_u32 s13, s15, 0
	s_add_u32 s9, s12, s9
	s_addc_u32 s12, 0, s13
	s_mul_i32 s14, s9, 21
	s_add_u32 s13, s9, 1
	v_sub_co_u32 v1, s7, s7, s14
	s_mul_hi_u32 s14, s9, 21
	s_addc_u32 s15, s12, 0
	s_mul_i32 s16, s12, 21
	v_sub_co_u32 v2, s17, v1, 21
	s_add_u32 s18, s9, 2
	s_addc_u32 s19, s12, 0
	s_add_i32 s14, s14, s16
	s_cmp_lg_u32 s7, 0
	v_readfirstlane_b32 s7, v2
	s_subb_u32 s8, s8, s14
	s_cmp_lg_u32 s17, 0
	s_subb_u32 s14, s8, 0
	s_cmp_gt_u32 s7, 20
	s_cselect_b32 s7, -1, 0
	s_cmp_eq_u32 s14, 0
	v_readfirstlane_b32 s14, v1
	s_cselect_b32 s7, s7, -1
	s_cmp_lg_u32 s7, 0
	s_cselect_b32 s13, s18, s13
	s_cselect_b32 s15, s19, s15
	s_cmp_gt_u32 s14, 20
	s_mov_b64 s[18:19], 0
	s_cselect_b32 s7, -1, 0
	s_cmp_eq_u32 s8, 0
	s_cselect_b32 s7, s7, -1
	s_cmp_lg_u32 s7, 0
	s_mov_b32 s7, 0
	s_cselect_b32 s8, s13, s9
	s_cselect_b32 s9, s15, s12
	s_add_u32 s16, s8, 1
	s_addc_u32 s17, s9, 0
	v_cmp_lt_u64_e64 s8, s[6:7], s[16:17]
	s_and_b32 vcc_lo, exec_lo, s8
	s_cbranch_vccnz .LBB0_2
; %bb.1:
	v_cvt_f32_u32_e32 v1, s16
	s_sub_i32 s9, 0, s16
	s_mov_b32 s19, s7
	v_rcp_iflag_f32_e32 v1, v1
	v_mul_f32_e32 v1, 0x4f7ffffe, v1
	v_cvt_u32_f32_e32 v1, v1
	v_readfirstlane_b32 s8, v1
	s_mul_i32 s9, s9, s8
	s_mul_hi_u32 s9, s8, s9
	s_add_i32 s8, s8, s9
	s_mul_hi_u32 s8, s6, s8
	s_mul_i32 s9, s8, s16
	s_add_i32 s12, s8, 1
	s_sub_i32 s9, s6, s9
	s_sub_i32 s13, s9, s16
	s_cmp_ge_u32 s9, s16
	s_cselect_b32 s8, s12, s8
	s_cselect_b32 s9, s13, s9
	s_add_i32 s12, s8, 1
	s_cmp_ge_u32 s9, s16
	s_cselect_b32 s18, s12, s8
.LBB0_2:
	s_load_dwordx2 s[22:23], s[0:1], 0x10
	s_load_dwordx2 s[12:13], s[2:3], 0x8
	s_waitcnt lgkmcnt(0)
	v_cmp_lt_u64_e64 s0, s[18:19], s[22:23]
	s_and_b32 vcc_lo, exec_lo, s0
	s_mov_b64 s[0:1], s[18:19]
	s_cbranch_vccnz .LBB0_4
; %bb.3:
	v_cvt_f32_u32_e32 v1, s22
	s_sub_i32 s1, 0, s22
	v_rcp_iflag_f32_e32 v1, v1
	v_mul_f32_e32 v1, 0x4f7ffffe, v1
	v_cvt_u32_f32_e32 v1, v1
	v_readfirstlane_b32 s0, v1
	s_mul_i32 s1, s1, s0
	s_mul_hi_u32 s1, s0, s1
	s_add_i32 s0, s0, s1
	s_mul_hi_u32 s0, s18, s0
	s_mul_i32 s0, s0, s22
	s_sub_i32 s0, s18, s0
	s_sub_i32 s1, s0, s22
	s_cmp_ge_u32 s0, s22
	s_cselect_b32 s0, s1, s0
	s_sub_i32 s1, s0, s22
	s_cmp_ge_u32 s0, s22
	s_cselect_b32 s0, s1, s0
.LBB0_4:
	s_load_dwordx2 s[14:15], s[4:5], 0x50
	s_clause 0x1
	s_load_dwordx2 s[8:9], s[2:3], 0x0
	s_load_dwordx2 s[20:21], s[2:3], 0x10
	s_mul_i32 s1, s22, s17
	s_mul_hi_u32 s19, s22, s16
	s_mul_i32 s24, s22, s16
	s_add_i32 s1, s19, s1
	s_mul_i32 s19, s23, s16
	s_mov_b64 s[22:23], 0
	s_add_i32 s25, s1, s19
	v_cmp_lt_u64_e64 s1, s[6:7], s[24:25]
	s_and_b32 vcc_lo, exec_lo, s1
	s_cbranch_vccnz .LBB0_6
; %bb.5:
	v_cvt_f32_u32_e32 v1, s24
	s_sub_i32 s7, 0, s24
	v_rcp_iflag_f32_e32 v1, v1
	v_mul_f32_e32 v1, 0x4f7ffffe, v1
	v_cvt_u32_f32_e32 v1, v1
	v_readfirstlane_b32 s1, v1
	s_mul_i32 s7, s7, s1
	s_mul_hi_u32 s7, s1, s7
	s_add_i32 s1, s1, s7
	s_mul_hi_u32 s1, s6, s1
	s_mul_i32 s7, s1, s24
	s_add_i32 s19, s1, 1
	s_sub_i32 s7, s6, s7
	s_sub_i32 s22, s7, s24
	s_cmp_ge_u32 s7, s24
	s_cselect_b32 s1, s19, s1
	s_cselect_b32 s7, s22, s7
	s_add_i32 s19, s1, 1
	s_cmp_ge_u32 s7, s24
	s_cselect_b32 s22, s19, s1
.LBB0_6:
	s_load_dwordx2 s[2:3], s[2:3], 0x18
	s_mul_i32 s1, s18, s17
	s_mul_hi_u32 s7, s18, s16
	v_mul_u32_u24_e32 v1, 0xc31, v0
	s_mul_i32 s16, s18, s16
	s_add_i32 s7, s7, s1
	s_sub_u32 s1, s6, s16
	s_subb_u32 s6, 0, s7
	v_lshrrev_b32_e32 v68, 16, v1
	s_mul_i32 s6, s6, 21
	s_mul_hi_u32 s7, s1, 21
	s_mul_i32 s17, s1, 21
	s_add_i32 s16, s7, s6
	s_mul_hi_u32 s6, s12, s17
	s_mul_i32 s1, s12, s16
	v_mul_lo_u16 v1, v68, 21
	s_add_i32 s1, s6, s1
	s_mul_i32 s18, s13, s17
	s_load_dwordx2 s[6:7], s[4:5], 0x0
	s_add_i32 s1, s1, s18
	s_waitcnt lgkmcnt(0)
	s_mul_i32 s18, s21, s0
	s_mul_hi_u32 s19, s20, s0
	s_mul_i32 s21, s12, s17
	s_mul_i32 s0, s20, s0
	v_sub_nc_u16 v35, v0, v1
	s_add_i32 s19, s19, s18
	s_mul_i32 s3, s3, s22
	s_mul_hi_u32 s18, s2, s22
	s_add_u32 s0, s0, s21
	s_mul_i32 s2, s2, s22
	s_addc_u32 s1, s19, s1
	s_add_i32 s18, s18, s3
	s_add_u32 s2, s2, s0
	s_addc_u32 s3, s18, s1
	v_and_b32_e32 v69, 0xffff, v35
	s_add_u32 s0, s17, 21
	s_addc_u32 s1, s16, 0
	v_or_b32_e32 v36, 48, v68
	v_cmp_gt_u64_e64 s18, s[0:1], s[10:11]
	v_add_co_u32 v48, s17, s17, v69
	v_cmp_le_u64_e64 s1, s[0:1], s[10:11]
	v_add_co_ci_u32_e64 v49, null, s16, 0, s17
	v_add_nc_u32_e32 v38, 12, v68
	v_add_nc_u32_e32 v37, 60, v68
	;; [unrolled: 1-line block ×6, first 2 shown]
	s_and_b32 vcc_lo, exec_lo, s18
	s_mov_b32 s0, 0
	s_cbranch_vccnz .LBB0_8
; %bb.7:
	v_mad_u64_u32 v[1:2], null, s12, v69, 0
	v_mad_u64_u32 v[3:4], null, s8, v68, 0
	v_or_b32_e32 v71, 48, v68
	v_or_b32_e32 v14, 0x60, v68
	s_lshl_b64 s[16:17], s[2:3], 3
	v_or_b32_e32 v15, 0x90, v68
	s_add_u32 s16, s14, s16
	s_addc_u32 s17, s15, s17
	v_mad_u64_u32 v[5:6], null, s13, v69, v[2:3]
	v_mad_u64_u32 v[6:7], null, s8, v71, 0
	;; [unrolled: 1-line block ×4, first 2 shown]
	v_mov_b32_e32 v2, v5
	v_mad_u64_u32 v[4:5], null, s9, v68, v[4:5]
	v_mov_b32_e32 v5, v7
	v_add_nc_u32_e32 v72, 12, v68
	v_lshlrev_b64 v[1:2], 3, v[1:2]
	v_add_nc_u32_e32 v70, 60, v68
	v_add_nc_u32_e32 v24, 0x9c, v68
	v_mad_u64_u32 v[12:13], null, s9, v71, v[5:6]
	v_mov_b32_e32 v5, v9
	v_add_co_u32 v50, vcc_lo, s16, v1
	v_add_co_ci_u32_e32 v51, vcc_lo, s17, v2, vcc_lo
	v_lshlrev_b64 v[1:2], 3, v[3:4]
	v_mad_u64_u32 v[3:4], null, s9, v14, v[5:6]
	v_mov_b32_e32 v7, v12
	v_mad_u64_u32 v[12:13], null, s8, v72, 0
	v_mov_b32_e32 v4, v11
	v_add_co_u32 v1, vcc_lo, v50, v1
	v_lshlrev_b64 v[5:6], 3, v[6:7]
	v_mov_b32_e32 v9, v3
	v_add_co_ci_u32_e32 v2, vcc_lo, v51, v2, vcc_lo
	v_mov_b32_e32 v3, v13
	v_add_nc_u32_e32 v73, 24, v68
	v_mad_u64_u32 v[14:15], null, s9, v15, v[4:5]
	v_add_co_u32 v15, vcc_lo, v50, v5
	v_lshlrev_b64 v[4:5], 3, v[8:9]
	v_add_co_ci_u32_e32 v16, vcc_lo, v51, v6, vcc_lo
	v_add_nc_u32_e32 v33, 0x48, v68
	v_mov_b32_e32 v11, v14
	v_add_nc_u32_e32 v28, 0x78, v68
	v_mad_u64_u32 v[6:7], null, s9, v72, v[3:4]
	v_add_co_u32 v7, vcc_lo, v50, v4
	v_add_co_ci_u32_e32 v8, vcc_lo, v51, v5, vcc_lo
	v_add_nc_u32_e32 v5, 0x6c, v68
	v_lshlrev_b64 v[3:4], 3, v[10:11]
	v_mad_u64_u32 v[9:10], null, s8, v70, 0
	v_mov_b32_e32 v13, v6
	v_mad_u64_u32 v[17:18], null, s8, v5, 0
	v_add_co_u32 v19, vcc_lo, v50, v3
	v_add_co_ci_u32_e32 v20, vcc_lo, v51, v4, vcc_lo
	v_mov_b32_e32 v3, v10
	v_lshlrev_b64 v[11:12], 3, v[12:13]
	v_mov_b32_e32 v4, v18
	v_mad_u64_u32 v[26:27], null, s8, v28, 0
	v_add_nc_u32_e32 v74, 36, v68
	v_add_nc_u32_e32 v34, 0x54, v68
	v_mad_u64_u32 v[21:22], null, s9, v5, v[4:5]
	v_mad_u64_u32 v[13:14], null, s9, v70, v[3:4]
	;; [unrolled: 1-line block ×3, first 2 shown]
	s_clause 0x3
	global_load_dwordx2 v[5:6], v[1:2], off
	global_load_dwordx2 v[3:4], v[15:16], off
	;; [unrolled: 1-line block ×4, first 2 shown]
	v_add_co_u32 v11, vcc_lo, v50, v11
	v_mov_b32_e32 v18, v21
	v_mov_b32_e32 v10, v13
	v_add_co_ci_u32_e32 v12, vcc_lo, v51, v12, vcc_lo
	v_mov_b32_e32 v13, v23
	v_mad_u64_u32 v[30:31], null, s8, v34, 0
	v_lshlrev_b64 v[9:10], 3, v[9:10]
	v_add_nc_u32_e32 v47, 0xb4, v68
	v_mad_u64_u32 v[13:14], null, s9, v24, v[13:14]
	v_lshlrev_b64 v[14:15], 3, v[17:18]
	v_mad_u64_u32 v[17:18], null, s8, v73, 0
	v_add_co_u32 v9, vcc_lo, v50, v9
	v_add_co_ci_u32_e32 v10, vcc_lo, v51, v10, vcc_lo
	v_mov_b32_e32 v23, v13
	v_add_co_u32 v19, vcc_lo, v50, v14
	v_add_co_ci_u32_e32 v20, vcc_lo, v51, v15, vcc_lo
	v_lshlrev_b64 v[14:15], 3, v[22:23]
	v_mov_b32_e32 v13, v18
	v_mad_u64_u32 v[21:22], null, s8, v33, 0
	v_mad_u64_u32 v[45:46], null, s8, v47, 0
	;; [unrolled: 1-line block ×3, first 2 shown]
	v_add_co_u32 v24, vcc_lo, v50, v14
	v_mov_b32_e32 v13, v22
	v_add_co_ci_u32_e32 v25, vcc_lo, v51, v15, vcc_lo
	v_mov_b32_e32 v18, v23
	v_mad_u64_u32 v[22:23], null, s9, v33, v[13:14]
	s_clause 0x3
	global_load_dwordx2 v[13:14], v[11:12], off
	global_load_dwordx2 v[11:12], v[9:10], off
	;; [unrolled: 1-line block ×4, first 2 shown]
	v_mov_b32_e32 v19, v27
	v_add_nc_u32_e32 v25, 0xa8, v68
	v_lshlrev_b64 v[17:18], 3, v[17:18]
	v_mad_u64_u32 v[19:20], null, s9, v28, v[19:20]
	v_mad_u64_u32 v[23:24], null, s8, v25, 0
	v_lshlrev_b64 v[20:21], 3, v[21:22]
	v_mad_u64_u32 v[28:29], null, s8, v74, 0
	v_add_co_u32 v17, vcc_lo, v50, v17
	v_mov_b32_e32 v27, v19
	v_mov_b32_e32 v19, v24
	v_add_co_ci_u32_e32 v18, vcc_lo, v51, v18, vcc_lo
	v_mad_u64_u32 v[24:25], null, s9, v25, v[19:20]
	v_add_co_u32 v19, vcc_lo, v50, v20
	v_lshlrev_b64 v[25:26], 3, v[26:27]
	v_add_nc_u32_e32 v27, 0x84, v68
	v_add_co_ci_u32_e32 v20, vcc_lo, v51, v21, vcc_lo
	v_mov_b32_e32 v21, v29
	v_mad_u64_u32 v[43:44], null, s8, v27, 0
	v_add_co_u32 v25, vcc_lo, v50, v25
	v_mad_u64_u32 v[21:22], null, s9, v74, v[21:22]
	v_mov_b32_e32 v22, v31
	v_add_co_ci_u32_e32 v26, vcc_lo, v51, v26, vcc_lo
	v_mad_u64_u32 v[31:32], null, s9, v34, v[22:23]
	v_lshlrev_b64 v[23:24], 3, v[23:24]
	v_mov_b32_e32 v22, v44
	v_mov_b32_e32 v29, v21
	v_mad_u64_u32 v[21:22], null, s9, v27, v[22:23]
	v_mov_b32_e32 v22, v46
	v_add_co_u32 v23, vcc_lo, v50, v23
	v_lshlrev_b64 v[27:28], 3, v[28:29]
	v_lshlrev_b64 v[29:30], 3, v[30:31]
	v_add_co_ci_u32_e32 v24, vcc_lo, v51, v24, vcc_lo
	v_mad_u64_u32 v[46:47], null, s9, v47, v[22:23]
	v_mov_b32_e32 v44, v21
	v_add_co_u32 v21, vcc_lo, v50, v27
	v_add_co_ci_u32_e32 v22, vcc_lo, v51, v28, vcc_lo
	v_lshlrev_b64 v[27:28], 3, v[43:44]
	v_add_co_u32 v43, vcc_lo, v50, v29
	v_add_co_ci_u32_e32 v44, vcc_lo, v51, v30, vcc_lo
	v_lshlrev_b64 v[29:30], 3, v[45:46]
	v_add_co_u32 v45, vcc_lo, v50, v27
	v_add_co_ci_u32_e32 v46, vcc_lo, v51, v28, vcc_lo
	v_add_co_u32 v50, vcc_lo, v50, v29
	v_add_co_ci_u32_e32 v51, vcc_lo, v51, v30, vcc_lo
	s_clause 0x7
	global_load_dwordx2 v[29:30], v[17:18], off
	global_load_dwordx2 v[27:28], v[19:20], off
	;; [unrolled: 1-line block ×8, first 2 shown]
	s_andn2_b32 vcc_lo, exec_lo, s0
	s_cbranch_vccz .LBB0_9
	s_branch .LBB0_14
.LBB0_8:
                                        ; implicit-def: $vgpr1
                                        ; implicit-def: $vgpr9
                                        ; implicit-def: $vgpr25
                                        ; implicit-def: $vgpr23
                                        ; implicit-def: $vgpr21
                                        ; implicit-def: $vgpr17
                                        ; implicit-def: $vgpr19
                                        ; implicit-def: $vgpr31
                                        ; implicit-def: $vgpr27
                                        ; implicit-def: $vgpr29
                                        ; implicit-def: $vgpr15
                                        ; implicit-def: $vgpr11
                                        ; implicit-def: $vgpr13
                                        ; implicit-def: $vgpr7
                                        ; implicit-def: $vgpr3
                                        ; implicit-def: $vgpr5
                                        ; implicit-def: $vgpr72
                                        ; implicit-def: $vgpr73
                                        ; implicit-def: $vgpr74
                                        ; implicit-def: $vgpr71
                                        ; implicit-def: $vgpr70
                                        ; implicit-def: $vgpr33
                                        ; implicit-def: $vgpr34
.LBB0_9:
	s_mov_b32 s0, exec_lo
                                        ; implicit-def: $vgpr72
                                        ; implicit-def: $vgpr73
                                        ; implicit-def: $vgpr74
                                        ; implicit-def: $vgpr71
                                        ; implicit-def: $vgpr70
                                        ; implicit-def: $vgpr33
                                        ; implicit-def: $vgpr34
	v_cmpx_le_u64_e64 s[10:11], v[48:49]
	s_xor_b32 s0, exec_lo, s0
; %bb.10:
	v_add_nc_u32_e32 v72, 12, v68
	v_add_nc_u32_e32 v73, 24, v68
	;; [unrolled: 1-line block ×3, first 2 shown]
	v_or_b32_e32 v71, 48, v68
	v_add_nc_u32_e32 v70, 60, v68
	v_add_nc_u32_e32 v33, 0x48, v68
	;; [unrolled: 1-line block ×3, first 2 shown]
                                        ; implicit-def: $vgpr36
                                        ; implicit-def: $vgpr38
                                        ; implicit-def: $vgpr37
                                        ; implicit-def: $vgpr40
                                        ; implicit-def: $vgpr39
                                        ; implicit-def: $vgpr42
                                        ; implicit-def: $vgpr41
; %bb.11:
	s_or_saveexec_b32 s0, s0
                                        ; implicit-def: $vgpr1
                                        ; implicit-def: $vgpr9
                                        ; implicit-def: $vgpr25
                                        ; implicit-def: $vgpr23
                                        ; implicit-def: $vgpr21
                                        ; implicit-def: $vgpr17
                                        ; implicit-def: $vgpr19
                                        ; implicit-def: $vgpr31
                                        ; implicit-def: $vgpr27
                                        ; implicit-def: $vgpr29
                                        ; implicit-def: $vgpr15
                                        ; implicit-def: $vgpr11
                                        ; implicit-def: $vgpr13
                                        ; implicit-def: $vgpr7
                                        ; implicit-def: $vgpr3
                                        ; implicit-def: $vgpr5
	s_xor_b32 exec_lo, exec_lo, s0
	s_cbranch_execz .LBB0_13
; %bb.12:
	s_waitcnt vmcnt(12)
	v_mad_u64_u32 v[1:2], null, s12, v69, 0
	v_mad_u64_u32 v[3:4], null, s8, v68, 0
	;; [unrolled: 1-line block ×3, first 2 shown]
	s_waitcnt vmcnt(11)
	v_or_b32_e32 v13, 0x60, v68
	s_waitcnt vmcnt(9)
	v_or_b32_e32 v15, 0x90, v68
	s_lshl_b64 s[16:17], s[2:3], 3
	s_waitcnt vmcnt(1)
	v_add_nc_u32_e32 v21, 0x6c, v68
	v_mad_u64_u32 v[7:8], null, s13, v69, v[2:3]
	v_mov_b32_e32 v2, v4
	v_mad_u64_u32 v[8:9], null, s8, v13, 0
	v_mov_b32_e32 v4, v6
	s_add_u32 s16, s14, s16
	v_mad_u64_u32 v[10:11], null, s9, v68, v[2:3]
	v_mov_b32_e32 v2, v7
	v_mad_u64_u32 v[6:7], null, s9, v36, v[4:5]
	v_mov_b32_e32 v4, v9
	v_mad_u64_u32 v[11:12], null, s8, v15, 0
	v_lshlrev_b64 v[1:2], 3, v[1:2]
	s_addc_u32 s17, s15, s17
	v_mad_u64_u32 v[13:14], null, s9, v13, v[4:5]
	v_mov_b32_e32 v4, v10
	v_add_nc_u32_e32 v22, 0x9c, v68
	v_add_co_u32 v50, vcc_lo, s16, v1
	v_add_co_ci_u32_e32 v51, vcc_lo, s17, v2, vcc_lo
	v_lshlrev_b64 v[2:3], 3, v[3:4]
	v_mov_b32_e32 v1, v12
	v_lshlrev_b64 v[4:5], 3, v[5:6]
	v_mov_b32_e32 v9, v13
	v_mad_u64_u32 v[13:14], null, s8, v38, 0
	v_mad_u64_u32 v[6:7], null, s9, v15, v[1:2]
	v_add_co_u32 v1, vcc_lo, v50, v2
	v_add_co_ci_u32_e32 v2, vcc_lo, v51, v3, vcc_lo
	v_add_co_u32 v3, vcc_lo, v50, v4
	v_add_co_ci_u32_e32 v4, vcc_lo, v51, v5, vcc_lo
	v_mov_b32_e32 v12, v6
	v_mov_b32_e32 v5, v14
	v_lshlrev_b64 v[7:8], 3, v[8:9]
	v_mad_u64_u32 v[15:16], null, s8, v21, 0
	v_lshlrev_b64 v[9:10], 3, v[11:12]
	v_mad_u64_u32 v[5:6], null, s9, v38, v[5:6]
	v_mad_u64_u32 v[11:12], null, s8, v37, 0
	;; [unrolled: 1-line block ×3, first 2 shown]
	v_add_co_u32 v7, vcc_lo, v50, v7
	v_mov_b32_e32 v14, v5
	v_add_co_ci_u32_e32 v8, vcc_lo, v51, v8, vcc_lo
	v_mov_b32_e32 v5, v12
	v_add_co_u32 v9, vcc_lo, v50, v9
	v_add_co_ci_u32_e32 v10, vcc_lo, v51, v10, vcc_lo
	v_mad_u64_u32 v[19:20], null, s9, v37, v[5:6]
	s_clause 0x3
	global_load_dwordx2 v[5:6], v[1:2], off
	global_load_dwordx2 v[3:4], v[3:4], off
	;; [unrolled: 1-line block ×4, first 2 shown]
	v_mov_b32_e32 v9, v16
	v_mov_b32_e32 v10, v18
	v_lshlrev_b64 v[13:14], 3, v[13:14]
	v_add_nc_u32_e32 v29, 0x78, v68
	v_add_nc_u32_e32 v43, 0x84, v68
	v_mov_b32_e32 v12, v19
	v_mad_u64_u32 v[18:19], null, s9, v21, v[9:10]
	v_mad_u64_u32 v[9:10], null, s9, v22, v[10:11]
	;; [unrolled: 1-line block ×3, first 2 shown]
	v_lshlrev_b64 v[10:11], 3, v[11:12]
	v_add_co_u32 v12, vcc_lo, v50, v13
	v_mov_b32_e32 v16, v18
	v_mov_b32_e32 v18, v9
	v_add_co_ci_u32_e32 v13, vcc_lo, v51, v14, vcc_lo
	v_mov_b32_e32 v9, v20
	v_add_co_u32 v10, vcc_lo, v50, v10
	v_lshlrev_b64 v[14:15], 3, v[15:16]
	v_lshlrev_b64 v[16:17], 3, v[17:18]
	v_add_co_ci_u32_e32 v11, vcc_lo, v51, v11, vcc_lo
	v_mad_u64_u32 v[20:21], null, s9, v40, v[9:10]
	v_mad_u64_u32 v[21:22], null, s8, v39, 0
	s_waitcnt vmcnt(4)
	v_add_co_u32 v23, vcc_lo, v50, v14
	v_add_co_ci_u32_e32 v24, vcc_lo, v51, v15, vcc_lo
	v_add_co_u32 v25, vcc_lo, v50, v16
	v_add_co_ci_u32_e32 v26, vcc_lo, v51, v17, vcc_lo
	v_mad_u64_u32 v[17:18], null, s8, v29, 0
	v_lshlrev_b64 v[19:20], 3, v[19:20]
	v_mov_b32_e32 v9, v22
	v_add_nc_u32_e32 v44, 0xb4, v68
	v_mad_u64_u32 v[30:31], null, s8, v43, 0
	v_mov_b32_e32 v72, v38
	v_mad_u64_u32 v[27:28], null, s9, v39, v[9:10]
	s_clause 0x3
	global_load_dwordx2 v[13:14], v[12:13], off
	global_load_dwordx2 v[11:12], v[10:11], off
	;; [unrolled: 1-line block ×4, first 2 shown]
	v_mad_u64_u32 v[25:26], null, s9, v29, v[18:19]
	v_add_nc_u32_e32 v28, 0xa8, v68
	v_add_co_u32 v19, vcc_lo, v50, v19
	v_mov_b32_e32 v22, v27
	v_add_co_ci_u32_e32 v20, vcc_lo, v51, v20, vcc_lo
	v_mad_u64_u32 v[23:24], null, s8, v28, 0
	v_mov_b32_e32 v18, v25
	v_mad_u64_u32 v[25:26], null, s8, v42, 0
	v_lshlrev_b64 v[21:22], 3, v[21:22]
	v_mov_b32_e32 v73, v40
	v_lshlrev_b64 v[17:18], 3, v[17:18]
	v_mov_b32_e32 v74, v42
	v_mov_b32_e32 v71, v36
	;; [unrolled: 1-line block ×3, first 2 shown]
	v_mad_u64_u32 v[27:28], null, s9, v28, v[24:25]
	v_mad_u64_u32 v[28:29], null, s8, v41, 0
	v_add_co_u32 v21, vcc_lo, v50, v21
	v_add_co_ci_u32_e32 v22, vcc_lo, v51, v22, vcc_lo
	v_mov_b32_e32 v24, v27
	v_mad_u64_u32 v[26:27], null, s9, v42, v[26:27]
	v_mov_b32_e32 v27, v29
	v_add_co_u32 v17, vcc_lo, v50, v17
	v_lshlrev_b64 v[23:24], 3, v[23:24]
	v_add_co_ci_u32_e32 v18, vcc_lo, v51, v18, vcc_lo
	v_mad_u64_u32 v[32:33], null, s9, v41, v[27:28]
	v_mad_u64_u32 v[33:34], null, s8, v44, 0
	v_mov_b32_e32 v27, v31
	v_lshlrev_b64 v[25:26], 3, v[25:26]
	v_add_co_u32 v23, vcc_lo, v50, v23
	v_mov_b32_e32 v29, v32
	v_mad_u64_u32 v[31:32], null, s9, v43, v[27:28]
	v_mov_b32_e32 v27, v34
	v_add_co_ci_u32_e32 v24, vcc_lo, v51, v24, vcc_lo
	v_mad_u64_u32 v[43:44], null, s9, v44, v[27:28]
	v_lshlrev_b64 v[27:28], 3, v[28:29]
	v_add_co_u32 v44, vcc_lo, v50, v25
	v_add_co_ci_u32_e32 v45, vcc_lo, v51, v26, vcc_lo
	v_lshlrev_b64 v[25:26], 3, v[30:31]
	v_mov_b32_e32 v34, v43
	v_add_co_u32 v46, vcc_lo, v50, v27
	v_add_co_ci_u32_e32 v47, vcc_lo, v51, v28, vcc_lo
	v_lshlrev_b64 v[27:28], 3, v[33:34]
	v_add_co_u32 v33, vcc_lo, v50, v25
	v_add_co_ci_u32_e32 v34, vcc_lo, v51, v26, vcc_lo
	v_add_co_u32 v50, vcc_lo, v50, v27
	v_add_co_ci_u32_e32 v51, vcc_lo, v51, v28, vcc_lo
	s_clause 0x7
	global_load_dwordx2 v[29:30], v[19:20], off
	global_load_dwordx2 v[27:28], v[21:22], off
	;; [unrolled: 1-line block ×8, first 2 shown]
	v_mov_b32_e32 v33, v39
	v_mov_b32_e32 v34, v41
.LBB0_13:
	s_or_b32 exec_lo, exec_lo, s0
.LBB0_14:
	s_waitcnt vmcnt(13)
	v_sub_f32_e32 v36, v5, v7
	s_waitcnt vmcnt(12)
	v_sub_f32_e32 v1, v3, v1
	v_sub_f32_e32 v37, v6, v8
	;; [unrolled: 1-line block ×3, first 2 shown]
	s_waitcnt vmcnt(9)
	v_sub_f32_e32 v39, v13, v15
	v_fma_f32 v8, v5, 2.0, -v36
	v_fma_f32 v2, v3, 2.0, -v1
	s_waitcnt vmcnt(8)
	v_sub_f32_e32 v15, v11, v9
	v_fma_f32 v3, v4, 2.0, -v7
	v_sub_f32_e32 v4, v36, v7
	v_add_f32_e32 v5, v37, v1
	v_sub_f32_e32 v2, v8, v2
	v_sub_f32_e32 v1, v14, v16
	;; [unrolled: 1-line block ×3, first 2 shown]
	v_fma_f32 v38, v6, 2.0, -v37
	v_fma_f32 v13, v13, 2.0, -v39
	;; [unrolled: 1-line block ×7, first 2 shown]
	v_sub_f32_e32 v3, v38, v3
	v_sub_f32_e32 v10, v13, v10
	v_fma_f32 v9, v37, 2.0, -v5
	s_waitcnt vmcnt(5)
	v_sub_f32_e32 v37, v29, v31
	v_sub_f32_e32 v11, v36, v11
	v_fma_f32 v7, v38, 2.0, -v3
	v_sub_f32_e32 v38, v30, v32
	s_waitcnt vmcnt(4)
	v_sub_f32_e32 v32, v27, v25
	v_sub_f32_e32 v31, v28, v26
	v_fma_f32 v12, v13, 2.0, -v10
	v_sub_f32_e32 v14, v39, v16
	v_add_f32_e32 v15, v1, v15
	v_fma_f32 v13, v36, 2.0, -v11
	s_waitcnt vmcnt(1)
	v_sub_f32_e32 v36, v19, v21
	s_waitcnt vmcnt(0)
	v_sub_f32_e32 v21, v17, v23
	v_fma_f32 v25, v27, 2.0, -v32
	v_fma_f32 v26, v28, 2.0, -v31
	;; [unrolled: 1-line block ×4, first 2 shown]
	v_sub_f32_e32 v31, v37, v31
	v_sub_f32_e32 v39, v20, v22
	v_fma_f32 v22, v19, 2.0, -v36
	v_sub_f32_e32 v23, v18, v24
	v_fma_f32 v1, v17, 2.0, -v21
	v_mov_b32_e32 v62, 3
	v_fma_f32 v29, v29, 2.0, -v37
	v_fma_f32 v16, v37, 2.0, -v31
	;; [unrolled: 1-line block ×4, first 2 shown]
	v_sub_f32_e32 v18, v22, v1
	v_mul_u32_u24_e32 v37, 0x2a0, v68
	v_lshlrev_b32_sdwa v1, v62, v35 dst_sel:DWORD dst_unused:UNUSED_PAD src0_sel:DWORD src1_sel:WORD_0
	v_fma_f32 v30, v30, 2.0, -v38
	v_sub_f32_e32 v19, v24, v19
	v_fma_f32 v20, v22, 2.0, -v18
	v_sub_f32_e32 v22, v36, v23
	v_add3_u32 v37, 0, v37, v1
	v_add_f32_e32 v23, v39, v21
	v_fma_f32 v21, v24, 2.0, -v19
	v_mul_i32_i24_e32 v24, 0x2a0, v72
	v_sub_f32_e32 v25, v29, v25
	ds_write2_b64 v37, v[6:7], v[8:9] offset1:21
	v_and_b32_e32 v9, 3, v68
	v_sub_f32_e32 v26, v30, v26
	v_add_f32_e32 v32, v38, v32
	v_mul_i32_i24_e32 v6, 0x2a0, v73
	v_mul_i32_i24_e32 v8, 0x2a0, v74
	v_add3_u32 v7, 0, v24, v1
	ds_write2_b64 v37, v[2:3], v[4:5] offset0:42 offset1:63
	v_mul_u32_u24_e32 v4, 3, v9
	v_fma_f32 v29, v29, 2.0, -v25
	v_fma_f32 v30, v30, 2.0, -v26
	;; [unrolled: 1-line block ×3, first 2 shown]
	v_add3_u32 v2, 0, v6, v1
	v_fma_f32 v35, v36, 2.0, -v22
	v_fma_f32 v36, v39, 2.0, -v23
	v_add3_u32 v3, 0, v8, v1
	ds_write2_b64 v7, v[12:13], v[27:28] offset1:21
	ds_write2_b64 v7, v[10:11], v[14:15] offset0:42 offset1:63
	ds_write2_b64 v2, v[29:30], v[16:17] offset1:21
	ds_write2_b64 v2, v[25:26], v[31:32] offset0:42 offset1:63
	ds_write2_b64 v3, v[20:21], v[35:36] offset1:21
	v_lshlrev_b32_e32 v2, 3, v4
	v_lshl_or_b32 v7, v68, 2, v68
	ds_write2_b64 v3, v[18:19], v[22:23] offset0:42 offset1:63
	s_waitcnt lgkmcnt(0)
	s_barrier
	buffer_gl0_inv
	s_clause 0x1
	global_load_dwordx4 v[16:19], v2, s[6:7]
	global_load_dwordx2 v[43:44], v2, s[6:7] offset:16
	v_mul_u32_u24_e32 v2, 0xa8, v68
	v_lshl_or_b32 v9, v73, 2, v68
	v_lshl_or_b32 v10, v74, 2, v68
	v_and_b32_e32 v7, 51, v7
	v_mul_i32_i24_e32 v6, 0xa8, v74
	v_add3_u32 v2, 0, v2, v1
	v_and_b32_e32 v20, 0x7ff3, v9
	v_and_b32_e32 v21, 0x7ff3, v10
	v_mul_i32_i24_e32 v4, 0xa8, v72
	v_mul_u32_u24_e32 v24, 0xa8, v7
	v_add_nc_u32_e32 v7, 0x3f00, v2
	v_add_nc_u32_e32 v25, 0x2f40, v2
	v_mul_i32_i24_e32 v3, 0xa8, v71
	v_mul_i32_i24_e32 v5, 0xa8, v73
	v_add3_u32 v11, 0, v6, v1
	v_mul_u32_u24_e32 v28, 0xa8, v20
	v_mul_u32_u24_e32 v29, 0xa8, v21
	v_add_nc_u32_e32 v6, 0x4ec0, v2
	v_add3_u32 v9, 0, v4, v1
	v_add_nc_u32_e32 v4, 0x5e80, v2
	ds_read2_b64 v[20:23], v7 offset1:252
	v_add3_u32 v63, 0, v24, v1
	ds_read2_b64 v[24:27], v25 offset1:252
	v_add_nc_u32_e32 v39, 0x2400, v2
	v_add3_u32 v3, 0, v3, v1
	v_add3_u32 v10, 0, v5, v1
	v_add_nc_u32_e32 v5, 0x6e40, v2
	v_add3_u32 v64, 0, v28, v1
	v_add3_u32 v65, 0, v29, v1
	ds_read2_b64 v[28:31], v6 offset1:252
	ds_read2_b64 v[35:38], v4 offset1:252
	ds_read2_b32 v[45:46], v39 offset0:216 offset1:217
	ds_read_b64 v[50:51], v2
	ds_read_b64 v[52:53], v3
	;; [unrolled: 1-line block ×4, first 2 shown]
	ds_read2_b64 v[39:42], v5 offset1:252
	ds_read_b64 v[58:59], v11
	v_lshl_or_b32 v8, v72, 2, v68
	v_and_b32_e32 v13, 15, v72
	v_and_b32_e32 v14, 15, v73
	;; [unrolled: 1-line block ×3, first 2 shown]
	s_waitcnt vmcnt(0) lgkmcnt(0)
	v_and_b32_e32 v8, 0x7ff3, v8
	s_barrier
	buffer_gl0_inv
	v_lshlrev_b32_e32 v12, 3, v68
	v_and_b32_e32 v32, 15, v70
	v_mul_u32_u24_e32 v8, 0xa8, v8
	v_lshlrev_b32_e32 v47, 3, v14
	v_lshlrev_b32_e32 v60, 3, v15
	;; [unrolled: 1-line block ×3, first 2 shown]
	v_cmp_gt_u32_e64 s0, 0x54, v0
	v_add3_u32 v8, 0, v8, v1
	s_mov_b32 s16, 0
                                        ; kill: def $vgpr0 killed $sgpr0 killed $exec
	v_mul_f32_e32 v66, v19, v21
	v_mul_f32_e32 v67, v19, v20
	;; [unrolled: 1-line block ×24, first 2 shown]
	v_fma_f32 v20, v18, v20, -v66
	v_fmac_f32_e32 v67, v18, v21
	v_fma_f32 v21, v22, v18, -v75
	v_fmac_f32_e32 v76, v23, v18
	v_fma_f32 v22, v24, v16, -v77
	v_fmac_f32_e32 v78, v25, v16
	v_fma_f32 v23, v26, v16, -v79
	v_fmac_f32_e32 v80, v27, v16
	v_fma_f32 v24, v28, v18, -v81
	v_fmac_f32_e32 v82, v29, v18
	v_fma_f32 v25, v30, v18, -v83
	v_fmac_f32_e32 v19, v31, v18
	v_fma_f32 v18, v16, v52, -v84
	v_fmac_f32_e32 v85, v16, v53
	v_fma_f32 v26, v16, v45, -v86
	v_fmac_f32_e32 v87, v46, v16
	v_fma_f32 v16, v43, v35, -v17
	v_fmac_f32_e32 v88, v43, v36
	v_fma_f32 v17, v37, v43, -v89
	v_fmac_f32_e32 v90, v38, v43
	v_fma_f32 v27, v39, v43, -v91
	v_fmac_f32_e32 v92, v40, v43
	v_fma_f32 v28, v41, v43, -v93
	v_fmac_f32_e32 v44, v42, v43
	v_sub_f32_e32 v29, v50, v20
	v_sub_f32_e32 v30, v51, v67
	v_sub_f32_e32 v20, v18, v16
	v_sub_f32_e32 v16, v85, v88
	v_sub_f32_e32 v31, v54, v21
	v_sub_f32_e32 v35, v55, v76
	v_sub_f32_e32 v21, v26, v17
	v_sub_f32_e32 v36, v87, v90
	v_sub_f32_e32 v37, v56, v24
	v_sub_f32_e32 v38, v57, v82
	v_sub_f32_e32 v24, v22, v27
	v_sub_f32_e32 v27, v78, v92
	v_sub_f32_e32 v41, v58, v25
	v_sub_f32_e32 v42, v59, v19
	v_sub_f32_e32 v25, v23, v28
	v_sub_f32_e32 v28, v80, v44
	v_fma_f32 v43, v50, 2.0, -v29
	v_fma_f32 v44, v51, 2.0, -v30
	;; [unrolled: 1-line block ×4, first 2 shown]
	v_sub_f32_e32 v16, v29, v16
	v_fma_f32 v45, v54, 2.0, -v31
	v_fma_f32 v46, v55, 2.0, -v35
	;; [unrolled: 1-line block ×4, first 2 shown]
	v_add_f32_e32 v17, v30, v20
	v_sub_f32_e32 v18, v31, v36
	v_add_f32_e32 v19, v35, v21
	v_fma_f32 v52, v56, 2.0, -v37
	v_fma_f32 v53, v57, 2.0, -v38
	;; [unrolled: 1-line block ×4, first 2 shown]
	v_add_f32_e32 v21, v38, v24
	v_fma_f32 v55, v58, 2.0, -v41
	v_fma_f32 v56, v59, 2.0, -v42
	;; [unrolled: 1-line block ×4, first 2 shown]
	v_add_f32_e32 v23, v42, v25
	v_sub_f32_e32 v24, v43, v39
	v_sub_f32_e32 v25, v44, v40
	;; [unrolled: 1-line block ×3, first 2 shown]
	v_fma_f32 v26, v29, 2.0, -v16
	v_sub_f32_e32 v28, v45, v50
	v_sub_f32_e32 v29, v46, v51
	;; [unrolled: 1-line block ×3, first 2 shown]
	v_fma_f32 v27, v30, 2.0, -v17
	v_fma_f32 v30, v31, 2.0, -v18
	;; [unrolled: 1-line block ×3, first 2 shown]
	v_sub_f32_e32 v35, v52, v36
	v_sub_f32_e32 v36, v53, v54
	;; [unrolled: 1-line block ×4, first 2 shown]
	ds_write2_b64 v63, v[24:25], v[16:17] offset0:168 offset1:252
	v_fma_f32 v16, v43, 2.0, -v24
	v_fma_f32 v17, v44, 2.0, -v25
	;; [unrolled: 1-line block ×12, first 2 shown]
	ds_write2_b64 v63, v[16:17], v[26:27] offset1:84
	ds_write2_b64 v8, v[24:25], v[30:31] offset1:84
	ds_write2_b64 v8, v[28:29], v[18:19] offset0:168 offset1:252
	ds_write2_b64 v64, v[43:44], v[37:38] offset1:84
	ds_write2_b64 v64, v[35:36], v[20:21] offset0:168 offset1:252
	;; [unrolled: 2-line block ×3, first 2 shown]
	v_and_b32_e32 v16, 15, v33
	v_and_b32_e32 v17, 15, v34
	s_waitcnt lgkmcnt(0)
	s_barrier
	buffer_gl0_inv
	s_clause 0x2
	global_load_dwordx2 v[25:26], v47, s[6:7] offset:96
	global_load_dwordx2 v[35:36], v60, s[6:7] offset:96
	;; [unrolled: 1-line block ×3, first 2 shown]
	v_lshlrev_b32_e32 v8, 3, v32
	global_load_dwordx2 v[39:40], v12, s[6:7] offset:96
	v_lshlrev_b32_e32 v18, 3, v16
	v_lshlrev_b32_e32 v19, 3, v17
	s_clause 0x2
	global_load_dwordx2 v[41:42], v8, s[6:7] offset:96
	global_load_dwordx2 v[43:44], v18, s[6:7] offset:96
	global_load_dwordx2 v[45:46], v19, s[6:7] offset:96
	v_lshlrev_b32_e32 v28, 1, v72
	v_lshlrev_b32_e32 v77, 1, v73
	;; [unrolled: 1-line block ×5, first 2 shown]
	v_mul_i32_i24_e32 v18, 0xa8, v70
	v_mul_i32_i24_e32 v19, 0xa8, v33
	;; [unrolled: 1-line block ×3, first 2 shown]
	v_lshlrev_b32_e32 v47, 1, v33
	v_lshlrev_b32_e32 v67, 1, v34
	v_and_or_b32 v13, 0x3fe0, v28, v13
	v_and_or_b32 v14, 0x3fe0, v77, v14
	;; [unrolled: 1-line block ×7, first 2 shown]
	v_add3_u32 v29, 0, v18, v1
	v_add3_u32 v86, 0, v19, v1
	;; [unrolled: 1-line block ×3, first 2 shown]
	v_mul_u32_u24_e32 v13, 0xa8, v13
	v_mul_u32_u24_e32 v14, 0xa8, v14
	;; [unrolled: 1-line block ×7, first 2 shown]
	v_add3_u32 v88, 0, v13, v1
	v_add3_u32 v89, 0, v14, v1
	ds_read2_b64 v[13:16], v6 offset1:252
	v_add3_u32 v90, 0, v18, v1
	v_add3_u32 v91, 0, v19, v1
	;; [unrolled: 1-line block ×3, first 2 shown]
	ds_read2_b64 v[17:20], v7 offset1:252
	v_and_b32_e32 v83, 31, v33
	v_add3_u32 v93, 0, v21, v1
	v_add3_u32 v94, 0, v22, v1
	ds_read2_b64 v[21:24], v4 offset1:252
	ds_read_b64 v[50:51], v2
	ds_read2_b64 v[30:33], v5 offset1:252
	ds_read_b64 v[52:53], v9
	ds_read_b64 v[54:55], v3
	;; [unrolled: 1-line block ×7, first 2 shown]
	v_and_b32_e32 v84, 31, v34
	v_and_b32_e32 v79, 31, v73
	;; [unrolled: 1-line block ×3, first 2 shown]
	s_waitcnt vmcnt(0) lgkmcnt(0)
	s_barrier
	buffer_gl0_inv
	v_and_b32_e32 v78, 31, v72
	v_and_b32_e32 v80, 31, v74
	v_lshlrev_b32_e32 v85, 3, v79
	v_and_b32_e32 v82, 31, v70
	v_lshlrev_b32_e32 v27, 3, v78
	v_mul_f32_e32 v34, v26, v14
	v_mul_f32_e32 v26, v26, v13
	;; [unrolled: 1-line block ×16, first 2 shown]
	v_fma_f32 v34, v25, v13, -v34
	v_fma_f32 v13, v39, v17, -v97
	v_fmac_f32_e32 v98, v39, v18
	v_fmac_f32_e32 v26, v25, v14
	v_fma_f32 v25, v35, v15, -v95
	v_fma_f32 v15, v37, v19, -v96
	v_fmac_f32_e32 v38, v37, v20
	v_fmac_f32_e32 v36, v35, v16
	v_fma_f32 v21, v21, v39, -v99
	v_fmac_f32_e32 v40, v22, v39
	v_fma_f32 v23, v23, v41, -v100
	v_fmac_f32_e32 v42, v24, v41
	v_fma_f32 v30, v30, v43, -v101
	v_fmac_f32_e32 v44, v31, v43
	v_fma_f32 v31, v32, v45, -v102
	v_fmac_f32_e32 v46, v33, v45
	v_sub_f32_e32 v13, v50, v13
	v_sub_f32_e32 v14, v51, v98
	;; [unrolled: 1-line block ×16, first 2 shown]
	v_fma_f32 v32, v50, 2.0, -v13
	v_fma_f32 v33, v51, 2.0, -v14
	;; [unrolled: 1-line block ×6, first 2 shown]
	ds_write_b64 v2, v[13:14] offset:2688
	v_fma_f32 v13, v60, 2.0, -v19
	v_fma_f32 v14, v61, 2.0, -v20
	;; [unrolled: 1-line block ×10, first 2 shown]
	ds_write_b64 v2, v[32:33]
	ds_write_b64 v88, v[34:35]
	ds_write_b64 v88, v[15:16] offset:2688
	ds_write_b64 v89, v[36:37]
	ds_write_b64 v89, v[17:18] offset:2688
	ds_write_b64 v90, v[13:14]
	ds_write_b64 v90, v[19:20] offset:2688
	ds_write_b64 v91, v[38:39]
	ds_write_b64 v91, v[21:22] offset:2688
	ds_write_b64 v92, v[40:41]
	ds_write_b64 v92, v[23:24] offset:2688
	ds_write_b64 v93, v[42:43]
	ds_write_b64 v93, v[25:26] offset:2688
	ds_write_b64 v94, v[44:45]
	ds_write_b64 v94, v[30:31] offset:2688
	v_lshlrev_b32_e32 v13, 3, v81
	s_waitcnt lgkmcnt(0)
	s_barrier
	buffer_gl0_inv
	s_clause 0x1
	global_load_dwordx2 v[24:25], v12, s[6:7] offset:224
	global_load_dwordx2 v[34:35], v13, s[6:7] offset:224
	v_lshlrev_b32_e32 v12, 3, v80
	global_load_dwordx2 v[30:31], v85, s[6:7] offset:224
	v_lshlrev_b32_e32 v14, 3, v82
	;; [unrolled: 2-line block ×4, first 2 shown]
	s_clause 0x2
	global_load_dwordx2 v[36:37], v14, s[6:7] offset:224
	global_load_dwordx2 v[38:39], v12, s[6:7] offset:224
	;; [unrolled: 1-line block ×3, first 2 shown]
	v_and_or_b32 v12, 0x3fc0, v28, v78
	v_and_or_b32 v13, 0x3fc0, v77, v79
	;; [unrolled: 1-line block ×7, first 2 shown]
	v_mul_u32_u24_e32 v12, 0xa8, v12
	v_mul_u32_u24_e32 v13, 0xa8, v13
	;; [unrolled: 1-line block ×7, first 2 shown]
	v_add3_u32 v63, 0, v12, v1
	v_add3_u32 v64, 0, v13, v1
	;; [unrolled: 1-line block ×4, first 2 shown]
	ds_read2_b64 v[12:15], v7 offset1:252
	v_add3_u32 v67, 0, v18, v1
	v_add3_u32 v78, 0, v16, v1
	;; [unrolled: 1-line block ×3, first 2 shown]
	ds_read2_b64 v[16:19], v6 offset1:252
	ds_read2_b64 v[20:23], v4 offset1:252
	;; [unrolled: 1-line block ×3, first 2 shown]
	ds_read_b64 v[42:43], v2
	ds_read_b64 v[44:45], v9
	;; [unrolled: 1-line block ×8, first 2 shown]
	v_add_nc_u32_e32 v79, 0x5400, v2
	v_add_nc_u32_e32 v80, 0x31e0, v2
	;; [unrolled: 1-line block ×4, first 2 shown]
	s_waitcnt vmcnt(0) lgkmcnt(0)
	s_barrier
	buffer_gl0_inv
	v_mul_f32_e32 v50, v25, v13
	v_mul_f32_e32 v25, v25, v12
	v_mul_f32_e32 v85, v21, v35
	v_mul_f32_e32 v83, v31, v17
	v_mul_f32_e32 v31, v31, v16
	v_mul_f32_e32 v51, v27, v15
	v_mul_f32_e32 v27, v27, v14
	v_mul_f32_e32 v84, v33, v19
	v_mul_f32_e32 v33, v33, v18
	v_mul_f32_e32 v35, v20, v35
	v_mul_f32_e32 v86, v23, v37
	v_mul_f32_e32 v37, v22, v37
	v_mul_f32_e32 v87, v5, v39
	v_mul_f32_e32 v39, v4, v39
	v_mul_f32_e32 v88, v7, v41
	v_mul_f32_e32 v41, v6, v41
	v_fma_f32 v12, v24, v12, -v50
	v_fmac_f32_e32 v25, v24, v13
	v_fma_f32 v13, v26, v14, -v51
	v_fmac_f32_e32 v27, v26, v15
	;; [unrolled: 2-line block ×8, first 2 shown]
	v_sub_f32_e32 v4, v42, v12
	v_sub_f32_e32 v5, v43, v25
	;; [unrolled: 1-line block ×16, first 2 shown]
	v_fma_f32 v22, v42, 2.0, -v4
	v_fma_f32 v23, v43, 2.0, -v5
	;; [unrolled: 1-line block ×16, first 2 shown]
	ds_write_b64 v2, v[4:5] offset:5376
	ds_write_b64 v2, v[22:23]
	ds_write_b64 v63, v[24:25]
	ds_write_b64 v63, v[6:7] offset:5376
	ds_write_b64 v64, v[26:27]
	ds_write_b64 v64, v[12:13] offset:5376
	;; [unrolled: 2-line block ×7, first 2 shown]
	s_waitcnt lgkmcnt(0)
	s_barrier
	buffer_gl0_inv
	ds_read2st64_b64 v[4:7], v2 offset1:21
	ds_read2_b64 v[12:15], v79 offset1:252
	ds_read2_b64 v[16:19], v80 offset1:252
	;; [unrolled: 1-line block ×3, first 2 shown]
	ds_read_b64 v[54:55], v11
	ds_read2_b64 v[24:27], v82 offset1:252
	ds_read_b64 v[56:57], v10
	ds_read_b64 v[58:59], v9
	;; [unrolled: 1-line block ×3, first 2 shown]
	ds_read_b64 v[60:61], v2 offset:29568
	v_lshlrev_b32_e32 v9, 1, v68
                                        ; implicit-def: $vgpr3
	s_and_saveexec_b32 s17, s0
	s_cbranch_execz .LBB0_16
; %bb.15:
	v_add_nc_u32_e32 v0, 0x160, v2
	ds_read_b64 v[50:51], v29
	ds_read2st64_b64 v[0:3], v0 offset0:40 offset1:61
.LBB0_16:
	s_or_b32 exec_lo, exec_lo, s17
	v_and_b32_e32 v10, 0x7e, v75
	v_lshlrev_b32_e32 v9, 3, v9
	s_load_dwordx2 s[4:5], s[4:5], 0x8
	v_mul_lo_u32 v63, v48, v68
	v_or_b32_e32 v79, 64, v68
	v_lshlrev_b32_e32 v10, 3, v10
	v_mul_lo_u32 v64, v48, v72
	v_and_b32_e32 v66, 63, v73
	v_and_b32_e32 v8, 0x7e, v8
	v_mul_lo_u32 v94, v48, v79
	s_clause 0x1
	global_load_dwordx4 v[40:43], v10, s[6:7] offset:480
	global_load_dwordx4 v[44:47], v9, s[6:7] offset:480
	v_and_b32_e32 v10, 0x7e, v76
	v_bfe_u32 v82, v63, 8, 8
	v_or_b32_e32 v9, 64, v66
	v_lshlrev_b32_e32 v8, 3, v8
	v_lshlrev_b32_sdwa v83, v62, v63 dst_sel:DWORD dst_unused:UNUSED_PAD src0_sel:DWORD src1_sel:BYTE_0
	v_lshlrev_b32_e32 v10, 3, v10
	v_bfe_u32 v84, v64, 8, 8
	v_lshl_or_b32 v85, v82, 3, 0x800
	v_or_b32_e32 v80, 0x80, v68
	v_lshlrev_b32_sdwa v86, v62, v64 dst_sel:DWORD dst_unused:UNUSED_PAD src0_sel:DWORD src1_sel:BYTE_0
	global_load_dwordx4 v[36:39], v10, s[6:7] offset:480
	v_and_b32_e32 v10, 0x7e, v77
	v_mul_lo_u32 v101, v48, v9
	v_bfe_u32 v91, v94, 8, 8
	v_lshl_or_b32 v88, v84, 3, 0x800
	v_or_b32_e32 v78, 64, v72
	v_lshlrev_b32_e32 v10, 3, v10
	v_mul_lo_u32 v95, v48, v80
	v_lshlrev_b32_sdwa v90, v62, v94 dst_sel:DWORD dst_unused:UNUSED_PAD src0_sel:DWORD src1_sel:BYTE_0
	v_lshl_or_b32 v92, v91, 3, 0x800
	v_or_b32_e32 v81, 0x80, v72
	global_load_dwordx4 v[32:35], v10, s[6:7] offset:480
	v_and_b32_e32 v10, 0x7e, v28
	v_mul_lo_u32 v96, v48, v78
	v_and_b32_e32 v67, 63, v74
	v_bfe_u32 v102, v95, 8, 8
	v_mul_lo_u32 v97, v48, v81
	v_lshlrev_b32_e32 v10, 3, v10
	v_lshlrev_b32_sdwa v103, v62, v95 dst_sel:DWORD dst_unused:UNUSED_PAD src0_sel:DWORD src1_sel:BYTE_0
	v_and_b32_e32 v65, 63, v71
	v_mul_lo_u32 v98, v48, v66
	v_bfe_u32 v104, v96, 8, 8
	s_clause 0x1
	global_load_dwordx4 v[28:31], v10, s[6:7] offset:480
	global_load_dwordx4 v[8:11], v8, s[6:7] offset:480
	s_waitcnt lgkmcnt(0)
	s_clause 0x5
	global_load_dwordx2 v[82:83], v83, s[4:5]
	global_load_dwordx2 v[84:85], v85, s[4:5]
	;; [unrolled: 1-line block ×6, first 2 shown]
	v_lshlrev_b32_sdwa v105, v62, v96 dst_sel:DWORD dst_unused:UNUSED_PAD src0_sel:DWORD src1_sel:BYTE_0
	v_bfe_u32 v107, v97, 8, 8
	v_mul_lo_u32 v100, v48, v67
	v_mul_lo_u32 v99, v48, v65
	v_lshlrev_b32_sdwa v106, v62, v97 dst_sel:DWORD dst_unused:UNUSED_PAD src0_sel:DWORD src1_sel:BYTE_0
	v_bfe_u32 v108, v98, 8, 8
	v_lshlrev_b32_sdwa v109, v62, v98 dst_sel:DWORD dst_unused:UNUSED_PAD src0_sel:DWORD src1_sel:BYTE_0
	v_or_b32_e32 v66, 0x80, v66
	s_andn2_b32 vcc_lo, exec_lo, s1
	v_bfe_u32 v110, v99, 8, 8
	v_mul_lo_u32 v66, v48, v66
	s_waitcnt vmcnt(11)
	v_mul_f32_e32 v111, v61, v43
	v_mul_f32_e32 v112, v60, v43
	;; [unrolled: 1-line block ×4, first 2 shown]
	v_lshlrev_b32_sdwa v41, v62, v99 dst_sel:DWORD dst_unused:UNUSED_PAD src0_sel:DWORD src1_sel:BYTE_0
	v_fma_f32 v111, v60, v42, -v111
	v_fmac_f32_e32 v112, v61, v42
	v_fma_f32 v114, v26, v40, -v43
	v_fmac_f32_e32 v113, v27, v40
	v_lshl_or_b32 v27, v102, 3, 0x800
	v_bfe_u32 v42, v100, 8, 8
	v_lshl_or_b32 v43, v108, 3, 0x800
	s_waitcnt vmcnt(9)
	v_mul_f32_e32 v26, v37, v25
	v_mul_f32_e32 v115, v37, v24
	v_lshl_or_b32 v37, v104, 3, 0x800
	v_lshl_or_b32 v61, v110, 3, 0x800
	v_lshlrev_b32_sdwa v40, v62, v100 dst_sel:DWORD dst_unused:UNUSED_PAD src0_sel:DWORD src1_sel:BYTE_0
	v_fma_f32 v102, v36, v24, -v26
	v_fmac_f32_e32 v115, v36, v25
	s_clause 0x1
	global_load_dwordx2 v[24:25], v103, s[4:5]
	global_load_dwordx2 v[26:27], v27, s[4:5]
	v_mul_f32_e32 v36, v23, v39
	v_mul_f32_e32 v103, v22, v39
	v_lshl_or_b32 v39, v107, 3, 0x800
	s_waitcnt vmcnt(10)
	v_mul_f32_e32 v60, v35, v21
	v_mul_f32_e32 v107, v35, v20
	v_fma_f32 v104, v22, v38, -v36
	v_fmac_f32_e32 v103, v23, v38
	s_clause 0x2
	global_load_dwordx2 v[22:23], v105, s[4:5]
	global_load_dwordx2 v[35:36], v37, s[4:5]
	;; [unrolled: 1-line block ×3, first 2 shown]
	v_fma_f32 v105, v34, v20, -v60
	v_fmac_f32_e32 v107, v34, v21
	global_load_dwordx2 v[20:21], v39, s[4:5]
	v_mul_f32_e32 v34, v33, v19
	v_mul_f32_e32 v106, v33, v18
	v_lshl_or_b32 v39, v42, 3, 0x800
	s_waitcnt vmcnt(13)
	v_mul_f32_e32 v42, v29, v17
	v_mul_f32_e32 v60, v29, v16
	v_fma_f32 v108, v32, v18, -v34
	v_fmac_f32_e32 v106, v32, v19
	s_clause 0x1
	global_load_dwordx2 v[18:19], v109, s[4:5]
	global_load_dwordx2 v[32:33], v43, s[4:5]
	v_mul_f32_e32 v34, v31, v15
	v_fma_f32 v109, v28, v16, -v42
	v_fmac_f32_e32 v60, v28, v17
	v_mul_f32_e32 v110, v31, v14
	s_clause 0x1
	global_load_dwordx2 v[16:17], v41, s[4:5]
	global_load_dwordx2 v[28:29], v61, s[4:5]
	v_mul_f32_e32 v41, v47, v13
	v_mul_f32_e32 v47, v47, v12
	v_fma_f32 v61, v30, v14, -v34
	v_bfe_u32 v34, v101, 8, 8
	v_fmac_f32_e32 v110, v30, v15
	s_clause 0x1
	global_load_dwordx2 v[14:15], v40, s[4:5]
	global_load_dwordx2 v[30:31], v39, s[4:5]
	v_fma_f32 v116, v46, v12, -v41
	v_fmac_f32_e32 v47, v46, v13
	v_mul_f32_e32 v12, v45, v7
	v_mul_f32_e32 v117, v45, v6
	v_lshlrev_b32_sdwa v13, v62, v101 dst_sel:DWORD dst_unused:UNUSED_PAD src0_sel:DWORD src1_sel:BYTE_0
	v_lshl_or_b32 v34, v34, 3, 0x800
	v_bfe_u32 v41, v64, 16, 8
	v_fma_f32 v118, v44, v6, -v12
	v_fmac_f32_e32 v117, v44, v7
	s_clause 0x1
	global_load_dwordx2 v[6:7], v13, s[4:5]
	global_load_dwordx2 v[12:13], v34, s[4:5]
	v_bfe_u32 v34, v63, 16, 8
	s_waitcnt vmcnt(18)
	v_mul_f32_e32 v63, v82, v85
	v_bfe_u32 v45, v94, 16, 8
	v_bfe_u32 v42, v95, 16, 8
	v_lshl_or_b32 v41, v41, 3, 0x1000
	v_lshl_or_b32 v34, v34, 3, 0x1000
	v_fmac_f32_e32 v63, v83, v84
	v_lshl_or_b32 v45, v45, 3, 0x1000
	v_lshl_or_b32 v43, v42, 3, 0x1000
	global_load_dwordx2 v[39:40], v34, s[4:5]
	v_mul_f32_e32 v34, v83, v85
	v_or_b32_e32 v85, 64, v67
	s_clause 0x2
	global_load_dwordx2 v[41:42], v41, s[4:5]
	global_load_dwordx2 v[43:44], v43, s[4:5]
	;; [unrolled: 1-line block ×3, first 2 shown]
	v_fma_f32 v64, v82, v84, -v34
	s_waitcnt vmcnt(20)
	v_mul_f32_e32 v34, v87, v89
	v_mul_f32_e32 v82, v86, v89
	s_waitcnt vmcnt(18)
	v_mul_f32_e32 v84, v90, v93
	v_mul_lo_u32 v85, v48, v85
	v_bfe_u32 v89, v98, 16, 8
	v_fma_f32 v83, v86, v88, -v34
	v_mul_f32_e32 v34, v91, v93
	v_fmac_f32_e32 v82, v87, v88
	v_bfe_u32 v88, v97, 16, 8
	v_fmac_f32_e32 v84, v91, v92
	v_bfe_u32 v91, v99, 16, 8
	v_fma_f32 v86, v90, v92, -v34
	v_or_b32_e32 v34, 64, v65
	v_lshl_or_b32 v88, v88, 3, 0x1000
	v_bfe_u32 v90, v100, 16, 8
	v_mul_lo_u32 v87, v48, v34
	v_bfe_u32 v34, v96, 16, 8
	v_bfe_u32 v96, v101, 16, 8
	v_lshl_or_b32 v90, v90, 3, 0x1000
	s_waitcnt vmcnt(16)
	v_mul_f32_e32 v92, v25, v27
	v_mul_f32_e32 v93, v24, v27
	v_lshl_or_b32 v27, v34, 3, 0x1000
	v_bfe_u32 v34, v85, 8, 8
	v_fma_f32 v92, v24, v26, -v92
	v_fmac_f32_e32 v93, v25, v26
	global_load_dwordx2 v[24:25], v27, s[4:5]
	s_waitcnt vmcnt(15)
	v_mul_f32_e32 v94, v23, v36
	v_mul_f32_e32 v95, v22, v36
	global_load_dwordx2 v[26:27], v88, s[4:5]
	v_fma_f32 v88, v22, v35, -v94
	s_waitcnt vmcnt(14)
	v_mul_f32_e32 v22, v38, v21
	v_mul_f32_e32 v94, v37, v21
	v_fmac_f32_e32 v95, v23, v35
	v_lshl_or_b32 v23, v91, 3, 0x1000
	v_bfe_u32 v21, v66, 16, 8
	v_lshlrev_b32_sdwa v35, v62, v87 dst_sel:DWORD dst_unused:UNUSED_PAD src0_sel:DWORD src1_sel:BYTE_0
	v_fma_f32 v37, v37, v20, -v22
	v_fmac_f32_e32 v94, v38, v20
	s_waitcnt vmcnt(12)
	v_mul_f32_e32 v20, v19, v33
	v_mul_f32_e32 v38, v18, v33
	v_lshl_or_b32 v22, v34, 3, 0x800
	s_clause 0x1
	global_load_dwordx2 v[33:34], v23, s[4:5]
	global_load_dwordx2 v[35:36], v35, s[4:5]
	s_waitcnt vmcnt(12)
	v_mul_f32_e32 v23, v17, v29
	v_fma_f32 v91, v18, v32, -v20
	v_fmac_f32_e32 v38, v19, v32
	v_mul_f32_e32 v32, v16, v29
	v_lshl_or_b32 v29, v21, 3, 0x1000
	s_clause 0x1
	global_load_dwordx2 v[18:19], v22, s[4:5]
	global_load_dwordx2 v[20:21], v90, s[4:5]
	v_fma_f32 v90, v16, v28, -v23
	s_waitcnt vmcnt(12)
	v_mul_f32_e32 v22, v15, v31
	v_mul_f32_e32 v31, v14, v31
	v_lshl_or_b32 v23, v96, 3, 0x1000
	v_fmac_f32_e32 v32, v17, v28
	global_load_dwordx2 v[16:17], v29, s[4:5]
	v_lshl_or_b32 v28, v89, 3, 0x1000
	v_bfe_u32 v29, v66, 8, 8
	v_fma_f32 v89, v14, v30, -v22
	v_fmac_f32_e32 v31, v15, v30
	s_clause 0x1
	global_load_dwordx2 v[14:15], v23, s[4:5]
	global_load_dwordx2 v[22:23], v28, s[4:5]
	s_waitcnt vmcnt(13)
	v_mul_f32_e32 v28, v7, v13
	v_mul_f32_e32 v30, v6, v13
	v_lshlrev_b32_sdwa v13, v62, v66 dst_sel:DWORD dst_unused:UNUSED_PAD src0_sel:DWORD src1_sel:BYTE_0
	v_lshl_or_b32 v29, v29, 3, 0x800
	v_fma_f32 v66, v6, v12, -v28
	v_fmac_f32_e32 v30, v7, v12
	s_clause 0x1
	global_load_dwordx2 v[6:7], v13, s[4:5]
	global_load_dwordx2 v[12:13], v29, s[4:5]
	s_waitcnt vmcnt(3)
	v_mul_f32_e32 v123, v66, v15
	v_fmac_f32_e32 v123, v14, v30
	s_waitcnt vmcnt(0)
	v_mul_f32_e32 v28, v7, v13
	v_mul_f32_e32 v96, v6, v13
	v_fma_f32 v97, v6, v12, -v28
	v_lshlrev_b32_sdwa v6, v62, v85 dst_sel:DWORD dst_unused:UNUSED_PAD src0_sel:DWORD src1_sel:BYTE_0
	v_fmac_f32_e32 v96, v7, v12
	v_or_b32_e32 v12, 0x80, v67
	global_load_dwordx2 v[6:7], v6, s[4:5]
	v_mul_lo_u32 v28, v48, v12
	s_waitcnt vmcnt(0)
	v_mul_f32_e32 v12, v7, v19
	v_mul_f32_e32 v67, v6, v19
	v_bfe_u32 v19, v85, 16, 8
	v_fma_f32 v98, v6, v18, -v12
	v_bfe_u32 v6, v28, 8, 8
	v_fmac_f32_e32 v67, v7, v18
	v_lshlrev_b32_sdwa v7, v62, v28 dst_sel:DWORD dst_unused:UNUSED_PAD src0_sel:DWORD src1_sel:BYTE_0
	v_bfe_u32 v18, v28, 16, 8
	v_lshl_or_b32 v19, v19, 3, 0x1000
	v_lshl_or_b32 v12, v6, 3, 0x800
	s_clause 0x1
	global_load_dwordx2 v[6:7], v7, s[4:5]
	global_load_dwordx2 v[12:13], v12, s[4:5]
	v_lshl_or_b32 v18, v18, 3, 0x1000
	s_clause 0x1
	global_load_dwordx2 v[28:29], v18, s[4:5]
	global_load_dwordx2 v[18:19], v19, s[4:5]
	s_waitcnt vmcnt(2)
	v_mul_f32_e32 v85, v7, v13
	v_mul_f32_e32 v100, v6, v13
	v_or_b32_e32 v13, 0x80, v65
	v_bfe_u32 v65, v87, 16, 8
	v_fma_f32 v99, v6, v12, -v85
	v_add_f32_e32 v6, v118, v116
	v_fmac_f32_e32 v100, v7, v12
	v_mul_f32_e32 v12, v64, v40
	v_mul_f32_e32 v7, v84, v46
	v_mul_lo_u32 v13, v48, v13
	v_fma_f32 v101, -0.5, v6, v4
	v_add_f32_e32 v6, v117, v47
	v_fmac_f32_e32 v12, v39, v63
	v_add_f32_e32 v4, v4, v118
	s_waitcnt vmcnt(0)
	v_mul_f32_e32 v127, v98, v19
	v_sub_f32_e32 v118, v118, v116
	v_fma_f32 v119, -0.5, v6, v5
	v_mul_f32_e32 v6, v63, v40
	v_add_f32_e32 v5, v5, v117
	v_sub_f32_e32 v117, v117, v47
	v_add_f32_e32 v4, v4, v116
	v_fmac_f32_e32 v127, v18, v67
	v_fma_f32 v120, v39, v64, -v6
	v_mul_f32_e32 v6, v82, v42
	v_mul_f32_e32 v39, v83, v42
	;; [unrolled: 1-line block ×3, first 2 shown]
	v_fma_f32 v64, v45, v86, -v7
	v_add_f32_e32 v124, v5, v47
	v_fma_f32 v40, v41, v83, -v6
	v_and_b32_e32 v6, 63, v70
	v_fmac_f32_e32 v42, v45, v84
	v_mul_f32_e32 v45, v93, v44
	v_mul_f32_e32 v44, v92, v44
	v_mul_f32_e32 v83, v94, v27
	v_or_b32_e32 v7, 64, v6
	v_fmac_f32_e32 v39, v41, v82
	v_fma_f32 v45, v43, v92, -v45
	v_fmac_f32_e32 v44, v43, v93
	v_mul_f32_e32 v43, v95, v25
	v_mul_lo_u32 v7, v48, v7
	v_mul_f32_e32 v92, v88, v25
	v_bfe_u32 v25, v87, 8, 8
	v_mul_f32_e32 v93, v37, v27
	v_fma_f32 v37, v26, v37, -v83
	v_mul_f32_e32 v83, v38, v23
	v_bfe_u32 v82, v13, 8, 8
	v_mul_lo_u32 v41, v48, v6
	v_bfe_u32 v27, v7, 8, 8
	v_fmac_f32_e32 v93, v26, v94
	v_bfe_u32 v26, v7, 16, 8
	v_fma_f32 v94, v22, v91, -v83
	v_mul_f32_e32 v91, v91, v23
	v_lshl_or_b32 v23, v25, 3, 0x800
	v_or_b32_e32 v6, 0x80, v6
	v_lshl_or_b32 v121, v26, 3, 0x1000
	v_fma_f32 v43, v24, v88, -v43
	v_fmac_f32_e32 v91, v22, v38
	v_lshl_or_b32 v38, v27, 3, 0x800
	global_load_dwordx2 v[26:27], v23, s[4:5]
	v_fmac_f32_e32 v92, v24, v95
	v_lshlrev_b32_sdwa v24, v62, v13 dst_sel:DWORD dst_unused:UNUSED_PAD src0_sel:DWORD src1_sel:BYTE_0
	v_lshl_or_b32 v25, v65, 3, 0x1000
	v_lshl_or_b32 v65, v82, 3, 0x800
	v_mul_lo_u32 v6, v48, v6
	v_bfe_u32 v13, v13, 16, 8
	v_mul_f32_e32 v22, v31, v21
	v_mul_f32_e32 v95, v89, v21
	s_clause 0x2
	global_load_dwordx2 v[82:83], v65, s[4:5]
	global_load_dwordx2 v[84:85], v24, s[4:5]
	global_load_dwordx2 v[86:87], v25, s[4:5]
	v_lshl_or_b32 v13, v13, 3, 0x1000
	v_fma_f32 v122, v20, v89, -v22
	v_bfe_u32 v88, v6, 8, 8
	v_add_f32_e32 v21, v60, v110
	v_mul_f32_e32 v22, v30, v15
	v_lshlrev_b32_sdwa v46, v62, v41 dst_sel:DWORD dst_unused:UNUSED_PAD src0_sel:DWORD src1_sel:BYTE_0
	v_lshlrev_b32_sdwa v7, v62, v7 dst_sel:DWORD dst_unused:UNUSED_PAD src0_sel:DWORD src1_sel:BYTE_0
	;; [unrolled: 1-line block ×3, first 2 shown]
	v_bfe_u32 v6, v6, 16, 8
	v_fmac_f32_e32 v95, v20, v31
	v_add_f32_e32 v31, v59, v60
	v_sub_f32_e32 v20, v109, v61
	v_fmac_f32_e32 v59, -0.5, v21
	v_fma_f32 v125, v14, v66, -v22
	v_add_f32_e32 v5, v109, v61
	v_mul_f32_e32 v14, v96, v17
	v_sub_f32_e32 v15, v60, v110
	v_lshl_or_b32 v60, v88, 3, 0x800
	global_load_dwordx2 v[88:89], v13, s[4:5]
	v_fmamk_f32 v30, v20, 0xbf5db3d7, v59
	v_fmac_f32_e32 v59, 0x3f5db3d7, v20
	v_fma_f32 v126, v16, v97, -v14
	v_mul_f32_e32 v97, v97, v17
	v_fma_f32 v5, -0.5, v5, v58
	v_lshl_or_b32 v65, v6, 3, 0x1000
	v_mul_f32_e32 v6, v67, v19
	v_bfe_u32 v63, v41, 8, 8
	v_bfe_u32 v41, v41, 16, 8
	v_fmac_f32_e32 v97, v16, v96
	v_fmamk_f32 v96, v15, 0x3f5db3d7, v5
	v_fmac_f32_e32 v5, 0xbf5db3d7, v15
	v_fma_f32 v98, v18, v98, -v6
	v_mul_f32_e32 v6, v59, v93
	v_lshl_or_b32 v63, v63, 3, 0x800
	v_lshl_or_b32 v41, v41, 3, 0x1000
	v_mul_f32_e32 v47, v5, v93
	s_clause 0x2
	global_load_dwordx2 v[18:19], v46, s[4:5]
	global_load_dwordx2 v[20:21], v63, s[4:5]
	;; [unrolled: 1-line block ×3, first 2 shown]
	v_fma_f32 v46, v5, v37, -v6
	v_mul_f32_e32 v5, v124, v12
	s_clause 0x3
	global_load_dwordx2 v[22:23], v7, s[4:5]
	global_load_dwordx2 v[24:25], v38, s[4:5]
	;; [unrolled: 1-line block ×4, first 2 shown]
	v_mul_f32_e32 v67, v4, v12
	v_add_f32_e32 v41, v58, v109
	v_add_f32_e32 v31, v31, v110
	v_fma_f32 v66, v4, v120, -v5
	s_clause 0x1
	global_load_dwordx2 v[12:13], v60, s[4:5]
	global_load_dwordx2 v[4:5], v65, s[4:5]
	v_fmac_f32_e32 v47, v59, v37
	v_add_f32_e32 v37, v41, v61
	v_mul_f32_e32 v38, v31, v39
	v_add_f32_e32 v41, v56, v108
	v_sub_f32_e32 v93, v108, v105
	v_mul_f32_e32 v59, v96, v92
	v_mul_f32_e32 v61, v37, v39
	v_fma_f32 v60, v37, v40, -v38
	v_fmamk_f32 v37, v118, 0xbf5db3d7, v119
	v_fmamk_f32 v39, v117, 0x3f5db3d7, v101
	v_fmac_f32_e32 v119, 0x3f5db3d7, v118
	v_fmac_f32_e32 v61, v31, v40
	v_add_f32_e32 v31, v57, v106
	v_mul_f32_e32 v58, v37, v42
	v_mul_f32_e32 v63, v39, v42
	v_add_f32_e32 v38, v108, v105
	v_fmac_f32_e32 v101, 0xbf5db3d7, v117
	v_mul_f32_e32 v40, v119, v44
	v_fma_f32 v62, v39, v64, -v58
	v_add_f32_e32 v39, v106, v107
	v_fmac_f32_e32 v63, v37, v64
	v_mul_f32_e32 v37, v30, v92
	v_add_f32_e32 v31, v31, v107
	v_add_f32_e32 v41, v41, v105
	v_fmac_f32_e32 v57, -0.5, v39
	v_fma_f32 v64, v101, v45, -v40
	v_fma_f32 v58, v96, v43, -v37
	v_sub_f32_e32 v37, v106, v107
	v_fmac_f32_e32 v59, v30, v43
	v_fma_f32 v30, -0.5, v38, v56
	v_mul_f32_e32 v38, v31, v91
	v_fmamk_f32 v40, v93, 0xbf5db3d7, v57
	v_fmac_f32_e32 v57, 0x3f5db3d7, v93
	v_mul_f32_e32 v65, v101, v44
	v_fmamk_f32 v44, v37, 0x3f5db3d7, v30
	v_fmac_f32_e32 v30, 0xbf5db3d7, v37
	v_fma_f32 v42, v41, v94, -v38
	v_mul_f32_e32 v38, v57, v97
	v_mul_f32_e32 v43, v41, v91
	;; [unrolled: 1-line block ×4, first 2 shown]
	v_fmac_f32_e32 v65, v119, v45
	v_fma_f32 v38, v30, v126, -v38
	v_add_f32_e32 v30, v55, v115
	v_fmac_f32_e32 v43, v31, v94
	v_mul_f32_e32 v45, v44, v123
	v_fma_f32 v44, v44, v125, -v37
	v_add_f32_e32 v31, v102, v104
	v_add_f32_e32 v37, v54, v102
	;; [unrolled: 1-line block ×3, first 2 shown]
	v_fmac_f32_e32 v45, v40, v125
	v_add_f32_e32 v40, v115, v103
	v_sub_f32_e32 v41, v115, v103
	v_fma_f32 v54, -0.5, v31, v54
	v_add_f32_e32 v31, v37, v104
	v_mul_f32_e32 v37, v30, v95
	v_fmac_f32_e32 v39, v57, v126
	v_fmac_f32_e32 v55, -0.5, v40
	v_fmamk_f32 v57, v41, 0x3f5db3d7, v54
	v_fmac_f32_e32 v54, 0xbf5db3d7, v41
	v_fma_f32 v40, v31, v122, -v37
	v_mul_f32_e32 v41, v31, v95
	v_add_f32_e32 v31, v53, v113
	v_sub_f32_e32 v56, v102, v104
	v_add_f32_e32 v91, v52, v114
	v_mul_f32_e32 v95, v99, v29
	v_mul_f32_e32 v29, v100, v29
	v_add_f32_e32 v93, v31, v112
	v_add_f32_e32 v31, v114, v111
	v_fmamk_f32 v37, v56, 0xbf5db3d7, v55
	v_fmac_f32_e32 v55, 0x3f5db3d7, v56
	v_add_f32_e32 v56, v113, v112
	v_fmac_f32_e32 v95, v28, v100
	v_fma_f32 v52, -0.5, v31, v52
	v_mul_f32_e32 v31, v57, v127
	v_mul_f32_e32 v96, v90, v34
	v_fmac_f32_e32 v53, -0.5, v56
	v_add_f32_e32 v56, v91, v111
	v_mul_f32_e32 v91, v37, v127
	v_fmac_f32_e32 v31, v37, v98
	v_fma_f32 v37, v28, v99, -v29
	v_mul_f32_e32 v34, v32, v34
	v_mul_f32_e32 v29, v55, v95
	v_fmac_f32_e32 v96, v33, v32
	v_sub_f32_e32 v92, v113, v112
	v_sub_f32_e32 v94, v114, v111
	v_fma_f32 v32, v33, v90, -v34
	v_fmac_f32_e32 v41, v30, v122
	v_mul_f32_e32 v33, v93, v96
	v_fma_f32 v30, v57, v98, -v91
	v_fmamk_f32 v57, v92, 0x3f5db3d7, v52
	v_fmamk_f32 v91, v94, 0xbf5db3d7, v53
	v_fmac_f32_e32 v53, 0x3f5db3d7, v94
	v_fmac_f32_e32 v52, 0xbf5db3d7, v92
	;; [unrolled: 1-line block ×3, first 2 shown]
	s_waitcnt vmcnt(13)
	v_mul_f32_e32 v28, v36, v27
	v_mul_f32_e32 v27, v35, v27
	v_fma_f32 v35, v35, v26, -v28
	v_fmac_f32_e32 v27, v36, v26
	v_fma_f32 v28, v54, v37, -v29
	v_mul_f32_e32 v29, v54, v95
	s_waitcnt vmcnt(11)
	v_mul_f32_e32 v34, v85, v83
	s_waitcnt vmcnt(10)
	v_mul_f32_e32 v26, v35, v87
	v_mul_f32_e32 v54, v27, v87
	v_fma_f32 v36, v56, v32, -v33
	v_fmac_f32_e32 v29, v55, v37
	v_fma_f32 v34, v84, v82, -v34
	v_fmac_f32_e32 v26, v86, v27
	v_mul_f32_e32 v27, v84, v83
	v_mul_f32_e32 v37, v56, v96
	v_fma_f32 v54, v86, v35, -v54
	v_mul_f32_e32 v55, v91, v26
	v_fmac_f32_e32 v27, v85, v82
	v_fmac_f32_e32 v37, v93, v32
	v_mul_f32_e32 v33, v57, v26
	v_fmac_f32_e32 v33, v91, v54
	s_waitcnt vmcnt(9)
	v_mul_f32_e32 v35, v34, v89
	v_mul_f32_e32 v32, v27, v89
	v_fmac_f32_e32 v35, v88, v27
	v_fma_f32 v26, v88, v34, -v32
	v_fma_f32 v32, v57, v54, -v55
	v_mul_f32_e32 v27, v53, v35
	v_mul_f32_e32 v35, v52, v35
	v_fma_f32 v34, v52, v26, -v27
	v_fmac_f32_e32 v35, v53, v26
	s_cbranch_vccnz .LBB0_18
; %bb.17:
	v_mad_u64_u32 v[26:27], null, s12, v69, 0
	v_mad_u64_u32 v[52:53], null, s8, v68, 0
	;; [unrolled: 1-line block ×5, first 2 shown]
	s_lshl_b64 s[4:5], s[2:3], 3
	v_and_or_b32 v90, 0x80, v76, v74
	v_mad_u64_u32 v[84:85], null, s9, v68, v[53:54]
	s_add_u32 s1, s14, s4
	s_addc_u32 s4, s15, s5
	v_mov_b32_e32 v27, v56
	v_mov_b32_e32 v56, v83
	v_add_nc_u32_e32 v91, 64, v90
	s_and_b32 s16, s0, exec_lo
	v_mov_b32_e32 v53, v84
	v_lshlrev_b64 v[26:27], 3, v[26:27]
	v_mad_u64_u32 v[83:84], null, s9, v79, v[55:56]
	v_mad_u64_u32 v[56:57], null, s9, v80, v[56:57]
	v_lshlrev_b64 v[52:53], 3, v[52:53]
	v_add_co_u32 v26, vcc_lo, s1, v26
	v_add_co_ci_u32_e32 v27, vcc_lo, s4, v27, vcc_lo
	v_mad_u64_u32 v[84:85], null, s8, v72, 0
	v_mov_b32_e32 v55, v83
	v_add_co_u32 v52, vcc_lo, v26, v52
	v_add_co_ci_u32_e32 v53, vcc_lo, v27, v53, vcc_lo
	v_lshlrev_b64 v[54:55], 3, v[54:55]
	v_mov_b32_e32 v83, v56
	v_mov_b32_e32 v56, v85
	global_store_dwordx2 v[52:53], v[66:67], off
	v_mad_u64_u32 v[52:53], null, s8, v78, 0
                                        ; kill: def $vgpr57 killed $sgpr0 killed $exec
	v_add_co_u32 v54, vcc_lo, v26, v54
	v_mad_u64_u32 v[56:57], null, s9, v72, v[56:57]
	v_lshlrev_b64 v[82:83], 3, v[82:83]
	v_add_co_ci_u32_e32 v55, vcc_lo, v27, v55, vcc_lo
	v_mad_u64_u32 v[86:87], null, s9, v78, v[53:54]
	v_mad_u64_u32 v[87:88], null, s8, v81, 0
	v_mov_b32_e32 v85, v56
	v_add_co_u32 v82, vcc_lo, v26, v82
	global_store_dwordx2 v[54:55], v[62:63], off
	v_add_co_ci_u32_e32 v83, vcc_lo, v27, v83, vcc_lo
	v_lshlrev_b64 v[55:56], 3, v[84:85]
	v_mov_b32_e32 v54, v88
	v_mov_b32_e32 v53, v86
	v_and_or_b32 v86, 0x80, v77, v73
	global_store_dwordx2 v[82:83], v[64:65], off
	v_mad_u64_u32 v[82:83], null, s9, v81, v[54:55]
	v_add_co_u32 v54, vcc_lo, v26, v55
	v_add_co_ci_u32_e32 v55, vcc_lo, v27, v56, vcc_lo
	v_mad_u64_u32 v[56:57], null, s8, v86, 0
	v_lshlrev_b64 v[52:53], 3, v[52:53]
	v_add_nc_u32_e32 v89, 64, v86
	global_store_dwordx2 v[54:55], v[60:61], off
	v_mov_b32_e32 v88, v82
	v_mov_b32_e32 v54, v57
	v_mad_u64_u32 v[84:85], null, s8, v89, 0
	v_add_co_u32 v52, vcc_lo, v26, v52
	v_mad_u64_u32 v[54:55], null, s9, v86, v[54:55]
	v_add_co_ci_u32_e32 v53, vcc_lo, v27, v53, vcc_lo
	v_add_nc_u32_e32 v86, 0x80, v86
	v_lshlrev_b64 v[82:83], 3, v[87:88]
	global_store_dwordx2 v[52:53], v[58:59], off
	v_mov_b32_e32 v52, v85
	v_mov_b32_e32 v57, v54
                                        ; kill: def $vgpr53 killed $sgpr0 killed $exec
	v_add_co_u32 v82, vcc_lo, v26, v82
	v_mad_u64_u32 v[52:53], null, s9, v89, v[52:53]
	v_lshlrev_b64 v[53:54], 3, v[56:57]
	v_mad_u64_u32 v[55:56], null, s8, v86, 0
	v_add_co_ci_u32_e32 v83, vcc_lo, v27, v83, vcc_lo
	v_mov_b32_e32 v85, v52
	v_add_co_u32 v52, vcc_lo, v26, v53
	v_add_co_ci_u32_e32 v53, vcc_lo, v27, v54, vcc_lo
	v_mov_b32_e32 v54, v56
	global_store_dwordx2 v[82:83], v[46:47], off
	v_mad_u64_u32 v[82:83], null, s8, v90, 0
	v_lshlrev_b64 v[56:57], 3, v[84:85]
	v_mad_u64_u32 v[84:85], null, s9, v86, v[54:55]
	global_store_dwordx2 v[52:53], v[42:43], off
	v_add_co_u32 v88, vcc_lo, v26, v56
	v_add_co_ci_u32_e32 v89, vcc_lo, v27, v57, vcc_lo
	v_mad_u64_u32 v[85:86], null, s9, v90, v[83:84]
	v_mad_u64_u32 v[86:87], null, s8, v91, 0
	v_mov_b32_e32 v56, v84
	global_store_dwordx2 v[88:89], v[44:45], off
	v_mov_b32_e32 v83, v85
	v_lshlrev_b64 v[53:54], 3, v[55:56]
	v_mov_b32_e32 v52, v87
	v_and_or_b32 v85, 0x80, v75, v71
	v_mad_u64_u32 v[55:56], null, s9, v91, v[52:53]
	v_lshlrev_b64 v[56:57], 3, v[82:83]
	v_add_co_u32 v52, vcc_lo, v26, v53
	v_add_co_ci_u32_e32 v53, vcc_lo, v27, v54, vcc_lo
	v_add_nc_u32_e32 v82, 0x80, v90
	v_add_co_u32 v56, vcc_lo, v26, v56
	v_add_co_ci_u32_e32 v57, vcc_lo, v27, v57, vcc_lo
	v_mov_b32_e32 v87, v55
	v_mad_u64_u32 v[54:55], null, s8, v82, 0
	global_store_dwordx2 v[52:53], v[38:39], off
	global_store_dwordx2 v[56:57], v[40:41], off
	v_mad_u64_u32 v[56:57], null, s8, v85, 0
	v_lshlrev_b64 v[52:53], 3, v[86:87]
	v_add_nc_u32_e32 v88, 64, v85
	v_add_nc_u32_e32 v89, 0x80, v85
	v_mad_u64_u32 v[82:83], null, s9, v82, v[55:56]
	v_mov_b32_e32 v55, v57
	v_add_co_u32 v52, vcc_lo, v26, v52
	v_mad_u64_u32 v[83:84], null, s8, v88, 0
	v_mad_u64_u32 v[85:86], null, s9, v85, v[55:56]
	v_add_co_ci_u32_e32 v53, vcc_lo, v27, v53, vcc_lo
	v_mov_b32_e32 v55, v82
	v_mad_u64_u32 v[86:87], null, s8, v89, 0
	global_store_dwordx2 v[52:53], v[30:31], off
	v_mov_b32_e32 v57, v85
	v_lshlrev_b64 v[53:54], 3, v[54:55]
	v_mov_b32_e32 v52, v84
	v_lshlrev_b64 v[56:57], 3, v[56:57]
	v_mov_b32_e32 v55, v87
	v_mad_u64_u32 v[84:85], null, s9, v88, v[52:53]
	v_add_co_u32 v52, vcc_lo, v26, v53
	v_mad_u64_u32 v[87:88], null, s9, v89, v[55:56]
	v_add_co_ci_u32_e32 v53, vcc_lo, v27, v54, vcc_lo
	v_add_co_u32 v54, vcc_lo, v26, v56
	v_add_co_ci_u32_e32 v55, vcc_lo, v27, v57, vcc_lo
	global_store_dwordx2 v[52:53], v[28:29], off
	v_lshlrev_b64 v[52:53], 3, v[83:84]
	global_store_dwordx2 v[54:55], v[36:37], off
	v_lshlrev_b64 v[54:55], 3, v[86:87]
	v_add_co_u32 v52, vcc_lo, v26, v52
	v_add_co_ci_u32_e32 v53, vcc_lo, v27, v53, vcc_lo
	v_add_co_u32 v54, vcc_lo, v26, v54
	v_add_co_ci_u32_e32 v55, vcc_lo, v27, v55, vcc_lo
	global_store_dwordx2 v[52:53], v[32:33], off
	global_store_dwordx2 v[54:55], v[34:35], off
	s_cbranch_execz .LBB0_19
	s_branch .LBB0_22
.LBB0_18:
                                        ; implicit-def: $vgpr26_vgpr27
.LBB0_19:
	s_mov_b32 s1, exec_lo
                                        ; implicit-def: $vgpr26_vgpr27
	v_cmpx_gt_u64_e64 s[10:11], v[48:49]
	s_cbranch_execz .LBB0_21
; %bb.20:
	v_mad_u64_u32 v[26:27], null, s12, v69, 0
	v_mad_u64_u32 v[48:49], null, s8, v68, 0
	;; [unrolled: 1-line block ×3, first 2 shown]
	s_lshl_b64 s[2:3], s[2:3], 3
	s_add_u32 s2, s14, s2
	v_mad_u64_u32 v[54:55], null, s13, v69, v[27:28]
	v_mad_u64_u32 v[55:56], null, s8, v80, 0
	;; [unrolled: 1-line block ×3, first 2 shown]
	s_addc_u32 s3, s15, s3
	v_mov_b32_e32 v27, v54
	v_mov_b32_e32 v54, v56
	;; [unrolled: 1-line block ×3, first 2 shown]
	v_lshlrev_b64 v[26:27], 3, v[26:27]
	v_mad_u64_u32 v[82:83], null, s8, v72, 0
	v_mad_u64_u32 v[56:57], null, s9, v79, v[53:54]
	v_mad_u64_u32 v[79:80], null, s9, v80, v[54:55]
	v_lshlrev_b64 v[48:49], 3, v[48:49]
	v_add_co_u32 v26, vcc_lo, s2, v26
	v_add_co_ci_u32_e32 v27, vcc_lo, s3, v27, vcc_lo
	v_mov_b32_e32 v53, v56
	v_mov_b32_e32 v56, v79
	v_add_co_u32 v48, vcc_lo, v26, v48
	v_add_co_ci_u32_e32 v49, vcc_lo, v27, v49, vcc_lo
	v_lshlrev_b64 v[55:56], 3, v[55:56]
	v_mov_b32_e32 v54, v83
	v_lshlrev_b64 v[52:53], 3, v[52:53]
	global_store_dwordx2 v[48:49], v[66:67], off
	v_mad_u64_u32 v[48:49], null, s8, v78, 0
	v_mad_u64_u32 v[66:67], null, s9, v72, v[54:55]
	v_add_co_u32 v52, vcc_lo, v26, v52
	v_add_co_ci_u32_e32 v53, vcc_lo, v27, v53, vcc_lo
	v_mad_u64_u32 v[78:79], null, s9, v78, v[49:50]
	v_mad_u64_u32 v[79:80], null, s8, v81, 0
	v_add_co_u32 v54, vcc_lo, v26, v55
	v_add_co_ci_u32_e32 v55, vcc_lo, v27, v56, vcc_lo
	v_mov_b32_e32 v83, v66
	global_store_dwordx2 v[52:53], v[62:63], off
	v_mov_b32_e32 v52, v80
	global_store_dwordx2 v[54:55], v[64:65], off
	v_and_or_b32 v64, 0x80, v77, v73
	v_lshlrev_b64 v[53:54], 3, v[82:83]
	v_mov_b32_e32 v49, v78
	s_andn2_b32 s2, s16, exec_lo
	v_mad_u64_u32 v[55:56], null, s9, v81, v[52:53]
	v_add_co_u32 v52, vcc_lo, v26, v53
	v_mad_u64_u32 v[56:57], null, s8, v64, 0
	v_add_co_ci_u32_e32 v53, vcc_lo, v27, v54, vcc_lo
	v_mov_b32_e32 v80, v55
	v_lshlrev_b64 v[48:49], 3, v[48:49]
	v_add_nc_u32_e32 v55, 64, v64
	global_store_dwordx2 v[52:53], v[60:61], off
	v_mov_b32_e32 v52, v57
	v_lshlrev_b64 v[53:54], 3, v[79:80]
	v_mad_u64_u32 v[60:61], null, s8, v55, 0
	v_add_co_u32 v48, vcc_lo, v26, v48
	v_mad_u64_u32 v[62:63], null, s9, v64, v[52:53]
	v_add_co_ci_u32_e32 v49, vcc_lo, v27, v49, vcc_lo
	v_add_co_u32 v52, vcc_lo, v26, v53
	v_add_co_ci_u32_e32 v53, vcc_lo, v27, v54, vcc_lo
	global_store_dwordx2 v[48:49], v[58:59], off
	v_mov_b32_e32 v48, v61
	v_mov_b32_e32 v57, v62
	v_add_nc_u32_e32 v58, 0x80, v64
	v_and_or_b32 v62, 0x80, v76, v74
                                        ; kill: def $vgpr49 killed $sgpr0 killed $exec
	global_store_dwordx2 v[52:53], v[46:47], off
	v_mad_u64_u32 v[46:47], null, s9, v55, v[48:49]
	v_lshlrev_b64 v[47:48], 3, v[56:57]
	v_mad_u64_u32 v[52:53], null, s8, v58, 0
	v_mad_u64_u32 v[54:55], null, s8, v62, 0
	s_and_b32 s0, s0, exec_lo
	v_mov_b32_e32 v61, v46
	v_add_co_u32 v46, vcc_lo, v26, v47
	v_add_co_ci_u32_e32 v47, vcc_lo, v27, v48, vcc_lo
	v_mov_b32_e32 v48, v53
	v_mov_b32_e32 v49, v55
	v_lshlrev_b64 v[56:57], 3, v[60:61]
	v_add_nc_u32_e32 v61, 64, v62
	global_store_dwordx2 v[46:47], v[42:43], off
	s_or_b32 s16, s2, s0
	v_mad_u64_u32 v[58:59], null, s9, v58, v[48:49]
	v_mad_u64_u32 v[59:60], null, s8, v61, 0
	v_add_co_u32 v55, vcc_lo, v26, v56
	v_mad_u64_u32 v[48:49], null, s9, v62, v[49:50]
	v_add_co_ci_u32_e32 v56, vcc_lo, v27, v57, vcc_lo
	v_mov_b32_e32 v53, v58
	v_mov_b32_e32 v42, v60
	global_store_dwordx2 v[55:56], v[44:45], off
	v_mov_b32_e32 v55, v48
	v_lshlrev_b64 v[43:44], 3, v[52:53]
	v_add_nc_u32_e32 v48, 0x80, v62
	v_mad_u64_u32 v[45:46], null, s9, v61, v[42:43]
	v_lshlrev_b64 v[46:47], 3, v[54:55]
	v_add_co_u32 v42, vcc_lo, v26, v43
	v_add_co_ci_u32_e32 v43, vcc_lo, v27, v44, vcc_lo
	v_add_co_u32 v46, vcc_lo, v26, v46
	v_mov_b32_e32 v60, v45
	v_mad_u64_u32 v[44:45], null, s8, v48, 0
	v_add_co_ci_u32_e32 v47, vcc_lo, v27, v47, vcc_lo
	global_store_dwordx2 v[42:43], v[38:39], off
	v_and_or_b32 v43, 0x80, v75, v71
	v_lshlrev_b64 v[38:39], 3, v[59:60]
	global_store_dwordx2 v[46:47], v[40:41], off
	v_mov_b32_e32 v40, v45
	v_mad_u64_u32 v[41:42], null, s8, v43, 0
	v_add_nc_u32_e32 v52, 64, v43
	v_add_nc_u32_e32 v53, 0x80, v43
	v_add_co_u32 v38, vcc_lo, v26, v38
	v_add_co_ci_u32_e32 v39, vcc_lo, v27, v39, vcc_lo
	v_mad_u64_u32 v[45:46], null, s9, v48, v[40:41]
	v_mad_u64_u32 v[46:47], null, s8, v52, 0
	;; [unrolled: 1-line block ×3, first 2 shown]
	v_mov_b32_e32 v40, v42
	global_store_dwordx2 v[38:39], v[30:31], off
	v_lshlrev_b64 v[38:39], 3, v[44:45]
	v_mov_b32_e32 v30, v47
	v_mad_u64_u32 v[42:43], null, s9, v43, v[40:41]
	v_mov_b32_e32 v31, v49
	v_add_co_u32 v38, vcc_lo, v26, v38
	v_add_co_ci_u32_e32 v39, vcc_lo, v27, v39, vcc_lo
	v_mad_u64_u32 v[43:44], null, s9, v52, v[30:31]
	v_mad_u64_u32 v[30:31], null, s9, v53, v[31:32]
	v_lshlrev_b64 v[40:41], 3, v[41:42]
	global_store_dwordx2 v[38:39], v[28:29], off
	v_mov_b32_e32 v47, v43
	v_mov_b32_e32 v49, v30
	v_add_co_u32 v40, vcc_lo, v26, v40
	v_lshlrev_b64 v[28:29], 3, v[46:47]
	v_add_co_ci_u32_e32 v41, vcc_lo, v27, v41, vcc_lo
	v_lshlrev_b64 v[30:31], 3, v[48:49]
	v_add_co_u32 v28, vcc_lo, v26, v28
	v_add_co_ci_u32_e32 v29, vcc_lo, v27, v29, vcc_lo
	v_add_co_u32 v30, vcc_lo, v26, v30
	v_add_co_ci_u32_e32 v31, vcc_lo, v27, v31, vcc_lo
	global_store_dwordx2 v[40:41], v[36:37], off
	global_store_dwordx2 v[28:29], v[32:33], off
	;; [unrolled: 1-line block ×3, first 2 shown]
.LBB0_21:
	s_or_b32 exec_lo, exec_lo, s1
.LBB0_22:
	s_and_saveexec_b32 s0, s16
	s_cbranch_execnz .LBB0_24
; %bb.23:
	s_endpgm
.LBB0_24:
	v_mul_f32_e32 v28, v1, v9
	v_mul_f32_e32 v29, v3, v11
	;; [unrolled: 1-line block ×4, first 2 shown]
	v_fma_f32 v0, v0, v8, -v28
	v_fma_f32 v2, v2, v10, -v29
	v_fmac_f32_e32 v9, v1, v8
	v_fmac_f32_e32 v11, v3, v10
	s_waitcnt vmcnt(7)
	v_mul_f32_e32 v1, v19, v21
	v_mul_f32_e32 v8, v18, v21
	v_add_f32_e32 v3, v0, v2
	v_add_f32_e32 v28, v51, v9
	v_sub_f32_e32 v21, v9, v11
	v_add_f32_e32 v9, v9, v11
	v_add_f32_e32 v10, v50, v0
	v_fmac_f32_e32 v50, -0.5, v3
	s_waitcnt vmcnt(4)
	v_mul_f32_e32 v3, v23, v25
	v_fma_f32 v1, v18, v20, -v1
	v_fmac_f32_e32 v51, -0.5, v9
	v_mul_f32_e32 v9, v22, v25
	v_fmac_f32_e32 v8, v19, v20
	v_fma_f32 v3, v22, v24, -v3
	v_mul_f32_e32 v18, v1, v15
	v_add_f32_e32 v10, v10, v2
	v_fmac_f32_e32 v9, v23, v24
	v_add_f32_e32 v11, v28, v11
	v_sub_f32_e32 v0, v0, v2
	s_waitcnt vmcnt(3)
	v_mul_f32_e32 v19, v3, v17
	v_mul_f32_e32 v2, v8, v15
	v_fmac_f32_e32 v18, v14, v8
	v_mul_f32_e32 v8, v9, v17
	v_fmamk_f32 v15, v0, 0xbf5db3d7, v51
	v_fmac_f32_e32 v19, v16, v9
	v_fma_f32 v2, v14, v1, -v2
	v_mul_f32_e32 v9, v11, v18
	v_fma_f32 v14, v16, v3, -v8
	s_waitcnt vmcnt(1)
	v_mul_f32_e32 v8, v7, v13
	v_mul_f32_e32 v16, v6, v13
	;; [unrolled: 1-line block ×3, first 2 shown]
	v_fmac_f32_e32 v51, 0x3f5db3d7, v0
	v_fma_f32 v0, v10, v2, -v9
	v_fma_f32 v17, v6, v12, -v8
	v_add_nc_u32_e32 v18, 0x7c, v68
	v_mad_u64_u32 v[8:9], null, s8, v70, 0
	v_fmamk_f32 v28, v21, 0x3f5db3d7, v50
	v_mul_f32_e32 v3, v15, v19
	v_fmac_f32_e32 v16, v7, v12
	v_mad_u64_u32 v[6:7], null, s8, v18, 0
	v_fmac_f32_e32 v1, v11, v2
	v_fma_f32 v2, v28, v14, -v3
	v_mul_f32_e32 v3, v28, v19
	v_add_nc_u32_e32 v19, 0xbc, v68
	v_fmac_f32_e32 v50, 0xbf5db3d7, v21
	s_waitcnt vmcnt(0)
	v_mul_f32_e32 v20, v16, v5
	v_mul_f32_e32 v21, v17, v5
	v_mov_b32_e32 v5, v9
	v_mad_u64_u32 v[10:11], null, s8, v19, 0
	v_fmac_f32_e32 v3, v15, v14
	v_fmac_f32_e32 v21, v4, v16
	v_mad_u64_u32 v[12:13], null, s9, v70, v[5:6]
	v_fma_f32 v16, v4, v17, -v20
	v_mad_u64_u32 v[4:5], null, s9, v18, v[7:8]
	v_mov_b32_e32 v5, v11
	v_mul_f32_e32 v17, v51, v21
	v_mul_f32_e32 v13, v50, v21
	v_mov_b32_e32 v9, v12
	v_mad_u64_u32 v[11:12], null, s9, v19, v[5:6]
	v_mov_b32_e32 v7, v4
	v_lshlrev_b64 v[4:5], 3, v[8:9]
	v_fma_f32 v12, v50, v16, -v17
	v_fmac_f32_e32 v13, v51, v16
	v_lshlrev_b64 v[6:7], 3, v[6:7]
	v_lshlrev_b64 v[8:9], 3, v[10:11]
	v_add_co_u32 v4, vcc_lo, v26, v4
	v_add_co_ci_u32_e32 v5, vcc_lo, v27, v5, vcc_lo
	v_add_co_u32 v6, vcc_lo, v26, v6
	v_add_co_ci_u32_e32 v7, vcc_lo, v27, v7, vcc_lo
	;; [unrolled: 2-line block ×3, first 2 shown]
	global_store_dwordx2 v[4:5], v[0:1], off
	global_store_dwordx2 v[6:7], v[2:3], off
	;; [unrolled: 1-line block ×3, first 2 shown]
	s_endpgm
	.section	.rodata,"a",@progbits
	.p2align	6, 0x0
	.amdhsa_kernel fft_rtc_fwd_len192_factors_4_4_2_2_3_wgs_252_tpt_12_dim3_sp_ip_CI_sbcc_twdbase8_3step_dirReg
		.amdhsa_group_segment_fixed_size 0
		.amdhsa_private_segment_fixed_size 0
		.amdhsa_kernarg_size 88
		.amdhsa_user_sgpr_count 6
		.amdhsa_user_sgpr_private_segment_buffer 1
		.amdhsa_user_sgpr_dispatch_ptr 0
		.amdhsa_user_sgpr_queue_ptr 0
		.amdhsa_user_sgpr_kernarg_segment_ptr 1
		.amdhsa_user_sgpr_dispatch_id 0
		.amdhsa_user_sgpr_flat_scratch_init 0
		.amdhsa_user_sgpr_private_segment_size 0
		.amdhsa_wavefront_size32 1
		.amdhsa_uses_dynamic_stack 0
		.amdhsa_system_sgpr_private_segment_wavefront_offset 0
		.amdhsa_system_sgpr_workgroup_id_x 1
		.amdhsa_system_sgpr_workgroup_id_y 0
		.amdhsa_system_sgpr_workgroup_id_z 0
		.amdhsa_system_sgpr_workgroup_info 0
		.amdhsa_system_vgpr_workitem_id 0
		.amdhsa_next_free_vgpr 128
		.amdhsa_next_free_sgpr 26
		.amdhsa_reserve_vcc 1
		.amdhsa_reserve_flat_scratch 0
		.amdhsa_float_round_mode_32 0
		.amdhsa_float_round_mode_16_64 0
		.amdhsa_float_denorm_mode_32 3
		.amdhsa_float_denorm_mode_16_64 3
		.amdhsa_dx10_clamp 1
		.amdhsa_ieee_mode 1
		.amdhsa_fp16_overflow 0
		.amdhsa_workgroup_processor_mode 1
		.amdhsa_memory_ordered 1
		.amdhsa_forward_progress 0
		.amdhsa_shared_vgpr_count 0
		.amdhsa_exception_fp_ieee_invalid_op 0
		.amdhsa_exception_fp_denorm_src 0
		.amdhsa_exception_fp_ieee_div_zero 0
		.amdhsa_exception_fp_ieee_overflow 0
		.amdhsa_exception_fp_ieee_underflow 0
		.amdhsa_exception_fp_ieee_inexact 0
		.amdhsa_exception_int_div_zero 0
	.end_amdhsa_kernel
	.text
.Lfunc_end0:
	.size	fft_rtc_fwd_len192_factors_4_4_2_2_3_wgs_252_tpt_12_dim3_sp_ip_CI_sbcc_twdbase8_3step_dirReg, .Lfunc_end0-fft_rtc_fwd_len192_factors_4_4_2_2_3_wgs_252_tpt_12_dim3_sp_ip_CI_sbcc_twdbase8_3step_dirReg
                                        ; -- End function
	.section	.AMDGPU.csdata,"",@progbits
; Kernel info:
; codeLenInByte = 12396
; NumSgprs: 28
; NumVgprs: 128
; ScratchSize: 0
; MemoryBound: 0
; FloatMode: 240
; IeeeMode: 1
; LDSByteSize: 0 bytes/workgroup (compile time only)
; SGPRBlocks: 3
; VGPRBlocks: 15
; NumSGPRsForWavesPerEU: 28
; NumVGPRsForWavesPerEU: 128
; Occupancy: 8
; WaveLimiterHint : 1
; COMPUTE_PGM_RSRC2:SCRATCH_EN: 0
; COMPUTE_PGM_RSRC2:USER_SGPR: 6
; COMPUTE_PGM_RSRC2:TRAP_HANDLER: 0
; COMPUTE_PGM_RSRC2:TGID_X_EN: 1
; COMPUTE_PGM_RSRC2:TGID_Y_EN: 0
; COMPUTE_PGM_RSRC2:TGID_Z_EN: 0
; COMPUTE_PGM_RSRC2:TIDIG_COMP_CNT: 0
	.text
	.p2alignl 6, 3214868480
	.fill 48, 4, 3214868480
	.type	__hip_cuid_cff8326a90a4c049,@object ; @__hip_cuid_cff8326a90a4c049
	.section	.bss,"aw",@nobits
	.globl	__hip_cuid_cff8326a90a4c049
__hip_cuid_cff8326a90a4c049:
	.byte	0                               ; 0x0
	.size	__hip_cuid_cff8326a90a4c049, 1

	.ident	"AMD clang version 19.0.0git (https://github.com/RadeonOpenCompute/llvm-project roc-6.4.0 25133 c7fe45cf4b819c5991fe208aaa96edf142730f1d)"
	.section	".note.GNU-stack","",@progbits
	.addrsig
	.addrsig_sym __hip_cuid_cff8326a90a4c049
	.amdgpu_metadata
---
amdhsa.kernels:
  - .args:
      - .actual_access:  read_only
        .address_space:  global
        .offset:         0
        .size:           8
        .value_kind:     global_buffer
      - .address_space:  global
        .offset:         8
        .size:           8
        .value_kind:     global_buffer
      - .actual_access:  read_only
        .address_space:  global
        .offset:         16
        .size:           8
        .value_kind:     global_buffer
      - .actual_access:  read_only
        .address_space:  global
        .offset:         24
        .size:           8
        .value_kind:     global_buffer
      - .offset:         32
        .size:           8
        .value_kind:     by_value
      - .actual_access:  read_only
        .address_space:  global
        .offset:         40
        .size:           8
        .value_kind:     global_buffer
      - .actual_access:  read_only
        .address_space:  global
        .offset:         48
        .size:           8
        .value_kind:     global_buffer
      - .offset:         56
        .size:           4
        .value_kind:     by_value
      - .actual_access:  read_only
        .address_space:  global
        .offset:         64
        .size:           8
        .value_kind:     global_buffer
      - .actual_access:  read_only
        .address_space:  global
        .offset:         72
        .size:           8
        .value_kind:     global_buffer
      - .address_space:  global
        .offset:         80
        .size:           8
        .value_kind:     global_buffer
    .group_segment_fixed_size: 0
    .kernarg_segment_align: 8
    .kernarg_segment_size: 88
    .language:       OpenCL C
    .language_version:
      - 2
      - 0
    .max_flat_workgroup_size: 252
    .name:           fft_rtc_fwd_len192_factors_4_4_2_2_3_wgs_252_tpt_12_dim3_sp_ip_CI_sbcc_twdbase8_3step_dirReg
    .private_segment_fixed_size: 0
    .sgpr_count:     28
    .sgpr_spill_count: 0
    .symbol:         fft_rtc_fwd_len192_factors_4_4_2_2_3_wgs_252_tpt_12_dim3_sp_ip_CI_sbcc_twdbase8_3step_dirReg.kd
    .uniform_work_group_size: 1
    .uses_dynamic_stack: false
    .vgpr_count:     128
    .vgpr_spill_count: 0
    .wavefront_size: 32
    .workgroup_processor_mode: 1
amdhsa.target:   amdgcn-amd-amdhsa--gfx1030
amdhsa.version:
  - 1
  - 2
...

	.end_amdgpu_metadata
